;; amdgpu-corpus repo=ROCm/rocFFT kind=compiled arch=gfx906 opt=O3
	.text
	.amdgcn_target "amdgcn-amd-amdhsa--gfx906"
	.amdhsa_code_object_version 6
	.protected	fft_rtc_fwd_len884_factors_13_4_17_wgs_204_tpt_68_halfLds_sp_op_CI_CI_sbrr_dirReg ; -- Begin function fft_rtc_fwd_len884_factors_13_4_17_wgs_204_tpt_68_halfLds_sp_op_CI_CI_sbrr_dirReg
	.globl	fft_rtc_fwd_len884_factors_13_4_17_wgs_204_tpt_68_halfLds_sp_op_CI_CI_sbrr_dirReg
	.p2align	8
	.type	fft_rtc_fwd_len884_factors_13_4_17_wgs_204_tpt_68_halfLds_sp_op_CI_CI_sbrr_dirReg,@function
fft_rtc_fwd_len884_factors_13_4_17_wgs_204_tpt_68_halfLds_sp_op_CI_CI_sbrr_dirReg: ; @fft_rtc_fwd_len884_factors_13_4_17_wgs_204_tpt_68_halfLds_sp_op_CI_CI_sbrr_dirReg
; %bb.0:
	s_load_dwordx4 s[16:19], s[4:5], 0x18
	s_load_dwordx4 s[12:15], s[4:5], 0x0
	;; [unrolled: 1-line block ×3, first 2 shown]
	v_mul_u32_u24_e32 v1, 0x3c4, v0
	v_lshrrev_b32_e32 v1, 16, v1
	v_mad_u64_u32 v[30:31], s[0:1], s6, 3, v[1:2]
	s_waitcnt lgkmcnt(0)
	s_load_dwordx2 s[2:3], s[16:17], 0x0
	s_load_dwordx2 s[20:21], s[18:19], 0x0
	v_mov_b32_e32 v1, 0
	v_cmp_lt_u64_e64 s[0:1], s[14:15], 2
	v_mov_b32_e32 v32, 0
	v_mov_b32_e32 v31, v1
	;; [unrolled: 1-line block ×5, first 2 shown]
	s_and_b64 vcc, exec, s[0:1]
	v_mov_b32_e32 v17, v33
	v_mov_b32_e32 v19, v31
	s_cbranch_vccnz .LBB0_8
; %bb.1:
	s_load_dwordx2 s[0:1], s[4:5], 0x10
	s_add_u32 s6, s18, 8
	s_addc_u32 s7, s19, 0
	s_add_u32 s22, s16, 8
	s_addc_u32 s23, s17, 0
	v_mov_b32_e32 v32, 0
	s_waitcnt lgkmcnt(0)
	s_add_u32 s24, s0, 8
	v_mov_b32_e32 v33, 0
	v_mov_b32_e32 v16, v32
	;; [unrolled: 1-line block ×3, first 2 shown]
	s_addc_u32 s25, s1, 0
	s_mov_b64 s[26:27], 1
	v_mov_b32_e32 v17, v33
	v_mov_b32_e32 v4, v31
.LBB0_2:                                ; =>This Inner Loop Header: Depth=1
	s_load_dwordx2 s[28:29], s[24:25], 0x0
                                        ; implicit-def: $vgpr18_vgpr19
	s_waitcnt lgkmcnt(0)
	v_or_b32_e32 v2, s29, v4
	v_cmp_ne_u64_e32 vcc, 0, v[1:2]
	s_and_saveexec_b64 s[0:1], vcc
	s_xor_b64 s[30:31], exec, s[0:1]
	s_cbranch_execz .LBB0_4
; %bb.3:                                ;   in Loop: Header=BB0_2 Depth=1
	v_cvt_f32_u32_e32 v2, s28
	v_cvt_f32_u32_e32 v5, s29
	s_sub_u32 s0, 0, s28
	s_subb_u32 s1, 0, s29
	v_mac_f32_e32 v2, 0x4f800000, v5
	v_rcp_f32_e32 v2, v2
	v_mul_f32_e32 v2, 0x5f7ffffc, v2
	v_mul_f32_e32 v5, 0x2f800000, v2
	v_trunc_f32_e32 v5, v5
	v_mac_f32_e32 v2, 0xcf800000, v5
	v_cvt_u32_f32_e32 v5, v5
	v_cvt_u32_f32_e32 v2, v2
	v_mul_lo_u32 v6, s0, v5
	v_mul_hi_u32 v7, s0, v2
	v_mul_lo_u32 v9, s1, v2
	v_mul_lo_u32 v8, s0, v2
	v_add_u32_e32 v6, v7, v6
	v_add_u32_e32 v6, v6, v9
	v_mul_hi_u32 v7, v2, v8
	v_mul_lo_u32 v9, v2, v6
	v_mul_hi_u32 v11, v2, v6
	v_mul_hi_u32 v10, v5, v8
	v_mul_lo_u32 v8, v5, v8
	v_mul_hi_u32 v12, v5, v6
	v_add_co_u32_e32 v7, vcc, v7, v9
	v_addc_co_u32_e32 v9, vcc, 0, v11, vcc
	v_mul_lo_u32 v6, v5, v6
	v_add_co_u32_e32 v7, vcc, v7, v8
	v_addc_co_u32_e32 v7, vcc, v9, v10, vcc
	v_addc_co_u32_e32 v8, vcc, 0, v12, vcc
	v_add_co_u32_e32 v6, vcc, v7, v6
	v_addc_co_u32_e32 v7, vcc, 0, v8, vcc
	v_add_co_u32_e32 v2, vcc, v2, v6
	v_addc_co_u32_e32 v5, vcc, v5, v7, vcc
	v_mul_lo_u32 v6, s0, v5
	v_mul_hi_u32 v7, s0, v2
	v_mul_lo_u32 v8, s1, v2
	v_mul_lo_u32 v9, s0, v2
	v_add_u32_e32 v6, v7, v6
	v_add_u32_e32 v6, v6, v8
	v_mul_lo_u32 v10, v2, v6
	v_mul_hi_u32 v11, v2, v9
	v_mul_hi_u32 v12, v2, v6
	;; [unrolled: 1-line block ×3, first 2 shown]
	v_mul_lo_u32 v9, v5, v9
	v_mul_hi_u32 v7, v5, v6
	v_add_co_u32_e32 v10, vcc, v11, v10
	v_addc_co_u32_e32 v11, vcc, 0, v12, vcc
	v_mul_lo_u32 v6, v5, v6
	v_add_co_u32_e32 v9, vcc, v10, v9
	v_addc_co_u32_e32 v8, vcc, v11, v8, vcc
	v_addc_co_u32_e32 v7, vcc, 0, v7, vcc
	v_add_co_u32_e32 v6, vcc, v8, v6
	v_addc_co_u32_e32 v7, vcc, 0, v7, vcc
	v_add_co_u32_e32 v2, vcc, v2, v6
	v_addc_co_u32_e32 v7, vcc, v5, v7, vcc
	v_mad_u64_u32 v[5:6], s[0:1], v3, v7, 0
	v_mul_hi_u32 v8, v3, v2
	v_add_co_u32_e32 v9, vcc, v8, v5
	v_addc_co_u32_e32 v10, vcc, 0, v6, vcc
	v_mad_u64_u32 v[5:6], s[0:1], v4, v2, 0
	v_mad_u64_u32 v[7:8], s[0:1], v4, v7, 0
	v_add_co_u32_e32 v2, vcc, v9, v5
	v_addc_co_u32_e32 v2, vcc, v10, v6, vcc
	v_addc_co_u32_e32 v5, vcc, 0, v8, vcc
	v_add_co_u32_e32 v2, vcc, v2, v7
	v_addc_co_u32_e32 v7, vcc, 0, v5, vcc
	v_mul_lo_u32 v8, s29, v2
	v_mul_lo_u32 v9, s28, v7
	v_mad_u64_u32 v[5:6], s[0:1], s28, v2, 0
	v_add3_u32 v6, v6, v9, v8
	v_sub_u32_e32 v8, v4, v6
	v_mov_b32_e32 v9, s29
	v_sub_co_u32_e32 v5, vcc, v3, v5
	v_subb_co_u32_e64 v8, s[0:1], v8, v9, vcc
	v_subrev_co_u32_e64 v9, s[0:1], s28, v5
	v_subbrev_co_u32_e64 v8, s[0:1], 0, v8, s[0:1]
	v_cmp_le_u32_e64 s[0:1], s29, v8
	v_cndmask_b32_e64 v10, 0, -1, s[0:1]
	v_cmp_le_u32_e64 s[0:1], s28, v9
	v_cndmask_b32_e64 v9, 0, -1, s[0:1]
	v_cmp_eq_u32_e64 s[0:1], s29, v8
	v_cndmask_b32_e64 v8, v10, v9, s[0:1]
	v_add_co_u32_e64 v9, s[0:1], 2, v2
	v_addc_co_u32_e64 v10, s[0:1], 0, v7, s[0:1]
	v_add_co_u32_e64 v11, s[0:1], 1, v2
	v_addc_co_u32_e64 v12, s[0:1], 0, v7, s[0:1]
	v_subb_co_u32_e32 v6, vcc, v4, v6, vcc
	v_cmp_ne_u32_e64 s[0:1], 0, v8
	v_cmp_le_u32_e32 vcc, s29, v6
	v_cndmask_b32_e64 v8, v12, v10, s[0:1]
	v_cndmask_b32_e64 v10, 0, -1, vcc
	v_cmp_le_u32_e32 vcc, s28, v5
	v_cndmask_b32_e64 v5, 0, -1, vcc
	v_cmp_eq_u32_e32 vcc, s29, v6
	v_cndmask_b32_e32 v5, v10, v5, vcc
	v_cmp_ne_u32_e32 vcc, 0, v5
	v_cndmask_b32_e64 v5, v11, v9, s[0:1]
	v_cndmask_b32_e32 v19, v7, v8, vcc
	v_cndmask_b32_e32 v18, v2, v5, vcc
.LBB0_4:                                ;   in Loop: Header=BB0_2 Depth=1
	s_andn2_saveexec_b64 s[0:1], s[30:31]
	s_cbranch_execz .LBB0_6
; %bb.5:                                ;   in Loop: Header=BB0_2 Depth=1
	v_cvt_f32_u32_e32 v2, s28
	s_sub_i32 s30, 0, s28
	v_mov_b32_e32 v19, v1
	v_rcp_iflag_f32_e32 v2, v2
	v_mul_f32_e32 v2, 0x4f7ffffe, v2
	v_cvt_u32_f32_e32 v2, v2
	v_mul_lo_u32 v5, s30, v2
	v_mul_hi_u32 v5, v2, v5
	v_add_u32_e32 v2, v2, v5
	v_mul_hi_u32 v2, v3, v2
	v_mul_lo_u32 v5, v2, s28
	v_add_u32_e32 v6, 1, v2
	v_sub_u32_e32 v5, v3, v5
	v_subrev_u32_e32 v7, s28, v5
	v_cmp_le_u32_e32 vcc, s28, v5
	v_cndmask_b32_e32 v5, v5, v7, vcc
	v_cndmask_b32_e32 v2, v2, v6, vcc
	v_add_u32_e32 v6, 1, v2
	v_cmp_le_u32_e32 vcc, s28, v5
	v_cndmask_b32_e32 v18, v2, v6, vcc
.LBB0_6:                                ;   in Loop: Header=BB0_2 Depth=1
	s_or_b64 exec, exec, s[0:1]
	v_mul_lo_u32 v2, v19, s28
	v_mul_lo_u32 v7, v18, s29
	v_mad_u64_u32 v[5:6], s[0:1], v18, s28, 0
	s_load_dwordx2 s[0:1], s[22:23], 0x0
	s_load_dwordx2 s[28:29], s[6:7], 0x0
	v_add3_u32 v2, v6, v7, v2
	v_sub_co_u32_e32 v3, vcc, v3, v5
	v_subb_co_u32_e32 v2, vcc, v4, v2, vcc
	s_waitcnt lgkmcnt(0)
	v_mul_lo_u32 v4, s0, v2
	v_mul_lo_u32 v5, s1, v3
	v_mad_u64_u32 v[32:33], s[0:1], s0, v3, v[32:33]
	v_mul_lo_u32 v2, s28, v2
	v_mul_lo_u32 v6, s29, v3
	v_mad_u64_u32 v[16:17], s[0:1], s28, v3, v[16:17]
	s_add_u32 s26, s26, 1
	s_addc_u32 s27, s27, 0
	s_add_u32 s6, s6, 8
	v_add3_u32 v17, v6, v17, v2
	s_addc_u32 s7, s7, 0
	v_mov_b32_e32 v2, s14
	s_add_u32 s22, s22, 8
	v_mov_b32_e32 v3, s15
	s_addc_u32 s23, s23, 0
	v_cmp_ge_u64_e32 vcc, s[26:27], v[2:3]
	s_add_u32 s24, s24, 8
	v_add3_u32 v33, v5, v33, v4
	s_addc_u32 s25, s25, 0
	s_cbranch_vccnz .LBB0_8
; %bb.7:                                ;   in Loop: Header=BB0_2 Depth=1
	v_mov_b32_e32 v3, v18
	v_mov_b32_e32 v4, v19
	s_branch .LBB0_2
.LBB0_8:
	s_load_dwordx2 s[0:1], s[4:5], 0x28
	s_lshl_b64 s[14:15], s[14:15], 3
	s_add_u32 s4, s18, s14
	s_addc_u32 s5, s19, s15
                                        ; implicit-def: $sgpr18_sgpr19
                                        ; implicit-def: $vgpr44
                                        ; implicit-def: $vgpr47
                                        ; implicit-def: $vgpr46
                                        ; implicit-def: $vgpr45
	s_waitcnt lgkmcnt(0)
	v_cmp_gt_u64_e32 vcc, s[0:1], v[18:19]
	v_cmp_le_u64_e64 s[0:1], s[0:1], v[18:19]
	s_and_saveexec_b64 s[6:7], s[0:1]
	s_xor_b64 s[0:1], exec, s[6:7]
; %bb.9:
	s_mov_b32 s6, 0x3c3c3c4
	v_mul_hi_u32 v1, v0, s6
	s_mov_b64 s[18:19], 0
                                        ; implicit-def: $vgpr32_vgpr33
	v_mul_u32_u24_e32 v1, 0x44, v1
	v_sub_u32_e32 v44, v0, v1
	v_add_u32_e32 v47, 0x44, v44
	v_add_u32_e32 v46, 0x88, v44
	v_add_u32_e32 v45, 0xcc, v44
                                        ; implicit-def: $vgpr0
; %bb.10:
	s_or_saveexec_b64 s[6:7], s[0:1]
	v_mov_b32_e32 v21, s19
	v_mov_b32_e32 v20, s18
                                        ; implicit-def: $vgpr27
                                        ; implicit-def: $vgpr23
                                        ; implicit-def: $vgpr13
                                        ; implicit-def: $vgpr9
                                        ; implicit-def: $vgpr5
                                        ; implicit-def: $vgpr1
                                        ; implicit-def: $vgpr3
                                        ; implicit-def: $vgpr7
                                        ; implicit-def: $vgpr11
                                        ; implicit-def: $vgpr15
                                        ; implicit-def: $vgpr29
                                        ; implicit-def: $vgpr25
	s_xor_b64 exec, exec, s[6:7]
	s_cbranch_execz .LBB0_12
; %bb.11:
	s_add_u32 s0, s16, s14
	s_mov_b32 s14, 0x3c3c3c4
	s_addc_u32 s1, s17, s15
	v_mul_hi_u32 v1, v0, s14
	s_load_dwordx2 s[0:1], s[0:1], 0x0
	v_mul_u32_u24_e32 v1, 0x44, v1
	v_sub_u32_e32 v44, v0, v1
	s_waitcnt lgkmcnt(0)
	v_mul_lo_u32 v6, s1, v18
	v_mad_u64_u32 v[0:1], s[14:15], s2, v44, 0
	v_mul_lo_u32 v7, s0, v19
	v_mad_u64_u32 v[2:3], s[0:1], s0, v18, 0
	v_add_u32_e32 v47, 0x44, v44
	v_add_u32_e32 v46, 0x88, v44
	v_mad_u64_u32 v[4:5], s[0:1], s3, v44, v[1:2]
	v_add3_u32 v3, v3, v7, v6
	v_lshlrev_b64 v[2:3], 3, v[2:3]
	v_mov_b32_e32 v1, v4
	v_mov_b32_e32 v4, s9
	v_add_co_u32_e64 v6, s[0:1], s8, v2
	v_addc_co_u32_e64 v7, s[0:1], v4, v3, s[0:1]
	v_mad_u64_u32 v[4:5], s[0:1], s2, v47, 0
	v_lshlrev_b64 v[2:3], 3, v[32:33]
	v_lshlrev_b64 v[0:1], 3, v[0:1]
	v_add_co_u32_e64 v8, s[0:1], v6, v2
	v_mov_b32_e32 v2, v5
	v_addc_co_u32_e64 v9, s[0:1], v7, v3, s[0:1]
	v_mad_u64_u32 v[2:3], s[0:1], s3, v47, v[2:3]
	v_mad_u64_u32 v[6:7], s[0:1], s2, v46, 0
	v_add_co_u32_e64 v31, s[0:1], v8, v0
	v_mov_b32_e32 v5, v2
	v_mov_b32_e32 v2, v7
	v_addc_co_u32_e64 v32, s[0:1], v9, v1, s[0:1]
	v_mad_u64_u32 v[2:3], s[0:1], s3, v46, v[2:3]
	v_add_u32_e32 v45, 0xcc, v44
	v_lshlrev_b64 v[0:1], 3, v[4:5]
	v_mad_u64_u32 v[3:4], s[0:1], s2, v45, 0
	v_add_co_u32_e64 v33, s[0:1], v8, v0
	v_mov_b32_e32 v7, v2
	v_mov_b32_e32 v2, v4
	v_addc_co_u32_e64 v34, s[0:1], v9, v1, s[0:1]
	v_lshlrev_b64 v[0:1], 3, v[6:7]
	v_mad_u64_u32 v[4:5], s[0:1], s3, v45, v[2:3]
	v_add_u32_e32 v7, 0x110, v44
	v_mad_u64_u32 v[5:6], s[0:1], s2, v7, 0
	v_add_co_u32_e64 v35, s[0:1], v8, v0
	v_mov_b32_e32 v2, v6
	v_addc_co_u32_e64 v36, s[0:1], v9, v1, s[0:1]
	v_lshlrev_b64 v[0:1], 3, v[3:4]
	v_mad_u64_u32 v[2:3], s[0:1], s3, v7, v[2:3]
	v_add_u32_e32 v7, 0x154, v44
	v_mad_u64_u32 v[3:4], s[0:1], s2, v7, 0
	v_add_co_u32_e64 v37, s[0:1], v8, v0
	v_mov_b32_e32 v6, v2
	v_mov_b32_e32 v2, v4
	v_addc_co_u32_e64 v38, s[0:1], v9, v1, s[0:1]
	v_lshlrev_b64 v[0:1], 3, v[5:6]
	v_mad_u64_u32 v[4:5], s[0:1], s3, v7, v[2:3]
	v_add_u32_e32 v7, 0x198, v44
	v_mad_u64_u32 v[5:6], s[0:1], s2, v7, 0
	v_add_co_u32_e64 v39, s[0:1], v8, v0
	v_mov_b32_e32 v2, v6
	v_addc_co_u32_e64 v40, s[0:1], v9, v1, s[0:1]
	v_lshlrev_b64 v[0:1], 3, v[3:4]
	v_mad_u64_u32 v[2:3], s[0:1], s3, v7, v[2:3]
	v_add_u32_e32 v7, 0x1dc, v44
	v_mad_u64_u32 v[3:4], s[0:1], s2, v7, 0
	v_add_co_u32_e64 v41, s[0:1], v8, v0
	v_mov_b32_e32 v6, v2
	v_mov_b32_e32 v2, v4
	v_addc_co_u32_e64 v42, s[0:1], v9, v1, s[0:1]
	v_lshlrev_b64 v[0:1], 3, v[5:6]
	v_mad_u64_u32 v[4:5], s[0:1], s3, v7, v[2:3]
	v_add_u32_e32 v7, 0x220, v44
	v_mad_u64_u32 v[5:6], s[0:1], s2, v7, 0
	v_add_co_u32_e64 v48, s[0:1], v8, v0
	v_mov_b32_e32 v2, v6
	v_addc_co_u32_e64 v49, s[0:1], v9, v1, s[0:1]
	v_lshlrev_b64 v[0:1], 3, v[3:4]
	v_mad_u64_u32 v[2:3], s[0:1], s3, v7, v[2:3]
	v_add_u32_e32 v7, 0x264, v44
	v_mad_u64_u32 v[3:4], s[0:1], s2, v7, 0
	v_add_co_u32_e64 v50, s[0:1], v8, v0
	v_mov_b32_e32 v6, v2
	v_mov_b32_e32 v2, v4
	v_addc_co_u32_e64 v51, s[0:1], v9, v1, s[0:1]
	v_lshlrev_b64 v[0:1], 3, v[5:6]
	v_mad_u64_u32 v[4:5], s[0:1], s3, v7, v[2:3]
	v_add_u32_e32 v7, 0x2a8, v44
	v_mad_u64_u32 v[5:6], s[0:1], s2, v7, 0
	v_add_co_u32_e64 v52, s[0:1], v8, v0
	v_mov_b32_e32 v2, v6
	v_addc_co_u32_e64 v53, s[0:1], v9, v1, s[0:1]
	v_lshlrev_b64 v[0:1], 3, v[3:4]
	v_mad_u64_u32 v[2:3], s[0:1], s3, v7, v[2:3]
	v_add_u32_e32 v7, 0x2ec, v44
	v_mad_u64_u32 v[3:4], s[0:1], s2, v7, 0
	v_add_co_u32_e64 v54, s[0:1], v8, v0
	v_mov_b32_e32 v6, v2
	v_mov_b32_e32 v2, v4
	v_addc_co_u32_e64 v55, s[0:1], v9, v1, s[0:1]
	v_lshlrev_b64 v[0:1], 3, v[5:6]
	v_mad_u64_u32 v[4:5], s[0:1], s3, v7, v[2:3]
	v_add_u32_e32 v7, 0x330, v44
	v_mad_u64_u32 v[5:6], s[0:1], s2, v7, 0
	v_add_co_u32_e64 v56, s[0:1], v8, v0
	v_mov_b32_e32 v2, v6
	v_addc_co_u32_e64 v57, s[0:1], v9, v1, s[0:1]
	v_lshlrev_b64 v[0:1], 3, v[3:4]
	v_mad_u64_u32 v[2:3], s[0:1], s3, v7, v[2:3]
	v_add_co_u32_e64 v58, s[0:1], v8, v0
	v_mov_b32_e32 v6, v2
	v_addc_co_u32_e64 v59, s[0:1], v9, v1, s[0:1]
	v_lshlrev_b64 v[0:1], 3, v[5:6]
	v_add_co_u32_e64 v60, s[0:1], v8, v0
	v_addc_co_u32_e64 v61, s[0:1], v9, v1, s[0:1]
	global_load_dwordx2 v[20:21], v[31:32], off
	global_load_dwordx2 v[26:27], v[33:34], off
	;; [unrolled: 1-line block ×13, first 2 shown]
.LBB0_12:
	s_or_b64 exec, exec, s[6:7]
	s_mov_b32 s0, 0xaaaaaaab
	v_mul_hi_u32 v31, v30, s0
	s_waitcnt vmcnt(11)
	v_add_f32_e32 v32, v26, v20
	s_waitcnt vmcnt(10)
	v_add_f32_e32 v32, v22, v32
	s_movk_i32 s0, 0xffd0
	v_lshrrev_b32_e32 v31, 1, v31
	v_lshl_add_u32 v31, v31, 1, v31
	v_sub_u32_e32 v30, v30, v31
	s_waitcnt vmcnt(0)
	v_add_f32_e32 v31, v26, v28
	v_mul_f32_e32 v33, 0x3f62ad3f, v31
	v_mul_f32_e32 v36, 0x3f116cb1, v31
	;; [unrolled: 1-line block ×6, first 2 shown]
	v_mul_u32_u24_e32 v34, 0x374, v30
	v_add_f32_e32 v30, v12, v32
	v_sub_f32_e32 v32, v27, v29
	v_mov_b32_e32 v35, v33
	v_mov_b32_e32 v37, v36
	;; [unrolled: 1-line block ×6, first 2 shown]
	v_fmac_f32_e32 v35, 0x3eedf032, v32
	v_fmac_f32_e32 v33, 0xbeedf032, v32
	;; [unrolled: 1-line block ×12, first 2 shown]
	v_add_f32_e32 v35, v35, v20
	v_add_f32_e32 v33, v33, v20
	;; [unrolled: 1-line block ×13, first 2 shown]
	v_sub_f32_e32 v32, v23, v25
	v_mul_f32_e32 v49, 0x3f116cb1, v31
	v_mov_b32_e32 v50, v49
	v_fmac_f32_e32 v49, 0xbf52af12, v32
	v_fmac_f32_e32 v50, 0x3f52af12, v32
	v_add_f32_e32 v33, v49, v33
	v_mul_f32_e32 v49, 0xbeb58ec6, v31
	v_add_f32_e32 v35, v50, v35
	v_mov_b32_e32 v50, v49
	v_fmac_f32_e32 v49, 0xbf6f5d39, v32
	v_fmac_f32_e32 v50, 0x3f6f5d39, v32
	v_add_f32_e32 v36, v49, v36
	v_mul_f32_e32 v49, 0xbf788fa5, v31
	v_add_f32_e32 v37, v50, v37
	v_mov_b32_e32 v50, v49
	v_fmac_f32_e32 v49, 0xbe750f2a, v32
	v_fmac_f32_e32 v50, 0x3e750f2a, v32
	v_add_f32_e32 v38, v49, v38
	v_mul_f32_e32 v49, 0xbf3f9e67, v31
	v_add_f32_e32 v39, v50, v39
	v_mov_b32_e32 v50, v49
	v_fmac_f32_e32 v49, 0x3f29c268, v32
	v_fmac_f32_e32 v50, 0xbf29c268, v32
	v_add_f32_e32 v40, v49, v40
	v_mul_f32_e32 v49, 0x3df6dbef, v31
	v_add_f32_e32 v41, v50, v41
	v_mov_b32_e32 v50, v49
	v_fmac_f32_e32 v49, 0x3f7e222b, v32
	v_mul_f32_e32 v31, 0x3f62ad3f, v31
	v_add_f32_e32 v42, v49, v42
	v_mov_b32_e32 v49, v31
	v_fmac_f32_e32 v31, 0x3eedf032, v32
	v_fmac_f32_e32 v49, 0xbeedf032, v32
	v_add_f32_e32 v20, v31, v20
	v_add_f32_e32 v31, v12, v14
	v_fmac_f32_e32 v50, 0xbf7e222b, v32
	v_add_f32_e32 v48, v49, v48
	v_sub_f32_e32 v32, v13, v15
	v_mul_f32_e32 v49, 0x3df6dbef, v31
	v_add_f32_e32 v43, v50, v43
	v_mov_b32_e32 v50, v49
	v_fmac_f32_e32 v49, 0xbf7e222b, v32
	v_fmac_f32_e32 v50, 0x3f7e222b, v32
	v_add_f32_e32 v33, v49, v33
	v_mul_f32_e32 v49, 0xbf788fa5, v31
	v_add_f32_e32 v35, v50, v35
	v_mov_b32_e32 v50, v49
	v_fmac_f32_e32 v49, 0xbe750f2a, v32
	v_fmac_f32_e32 v50, 0x3e750f2a, v32
	v_add_f32_e32 v36, v49, v36
	v_mul_f32_e32 v49, 0xbeb58ec6, v31
	v_add_f32_e32 v37, v50, v37
	v_mov_b32_e32 v50, v49
	v_fmac_f32_e32 v49, 0x3f6f5d39, v32
	v_fmac_f32_e32 v50, 0xbf6f5d39, v32
	v_add_f32_e32 v38, v49, v38
	v_mul_f32_e32 v49, 0x3f62ad3f, v31
	v_add_f32_e32 v39, v50, v39
	v_mov_b32_e32 v50, v49
	v_fmac_f32_e32 v49, 0x3eedf032, v32
	v_fmac_f32_e32 v50, 0xbeedf032, v32
	v_add_f32_e32 v40, v49, v40
	v_mul_f32_e32 v49, 0x3f116cb1, v31
	v_add_f32_e32 v41, v50, v41
	v_mov_b32_e32 v50, v49
	v_fmac_f32_e32 v49, 0xbf52af12, v32
	v_mul_f32_e32 v31, 0xbf3f9e67, v31
	v_add_f32_e32 v42, v49, v42
	v_mov_b32_e32 v49, v31
	v_fmac_f32_e32 v31, 0xbf29c268, v32
	v_fmac_f32_e32 v49, 0x3f29c268, v32
	v_add_f32_e32 v20, v31, v20
	v_add_f32_e32 v31, v8, v10
	v_fmac_f32_e32 v50, 0x3f52af12, v32
	v_add_f32_e32 v48, v49, v48
	v_sub_f32_e32 v32, v9, v11
	v_mul_f32_e32 v49, 0xbeb58ec6, v31
	v_add_f32_e32 v43, v50, v43
	;; [unrolled: 38-line block ×4, first 2 shown]
	v_mov_b32_e32 v50, v48
	v_fmac_f32_e32 v48, 0xbe750f2a, v32
	v_fmac_f32_e32 v50, 0x3e750f2a, v32
	v_add_f32_e32 v48, v48, v33
	v_mul_f32_e32 v33, 0x3f62ad3f, v31
	v_add_f32_e32 v35, v50, v35
	v_mov_b32_e32 v50, v33
	v_fmac_f32_e32 v33, 0x3eedf032, v32
	v_add_f32_e32 v30, v8, v30
	v_fmac_f32_e32 v50, 0xbeedf032, v32
	v_add_f32_e32 v33, v33, v36
	v_mul_f32_e32 v36, 0xbf3f9e67, v31
	v_add_f32_e32 v30, v4, v30
	v_add_f32_e32 v37, v50, v37
	v_mov_b32_e32 v50, v36
	v_fmac_f32_e32 v36, 0xbf29c268, v32
	v_add_f32_e32 v30, v0, v30
	v_fmac_f32_e32 v50, 0x3f29c268, v32
	v_add_f32_e32 v36, v36, v38
	v_mul_f32_e32 v38, 0x3f116cb1, v31
	v_add_f32_e32 v30, v2, v30
	;; [unrolled: 8-line block ×3, first 2 shown]
	v_add_f32_e32 v41, v50, v41
	v_mov_b32_e32 v50, v40
	v_fmac_f32_e32 v40, 0xbf6f5d39, v32
	v_mul_f32_e32 v31, 0x3df6dbef, v31
	v_add_f32_e32 v30, v14, v30
	v_add_f32_e32 v40, v40, v42
	v_mov_b32_e32 v42, v31
	v_fmac_f32_e32 v31, 0x3f7e222b, v32
	v_lshl_add_u32 v51, v34, 2, 0
	v_add_f32_e32 v30, v24, v30
	v_fmac_f32_e32 v42, 0xbf7e222b, v32
	v_add_f32_e32 v31, v31, v20
	v_mad_u32_u24 v20, v44, 52, v51
	v_add_f32_e32 v30, v28, v30
	v_fmac_f32_e32 v50, 0x3f6f5d39, v32
	v_add_f32_e32 v42, v42, v49
	v_mad_i32_i24 v49, v44, s0, v20
	s_load_dwordx2 s[4:5], s[4:5], 0x0
	v_add_f32_e32 v43, v50, v43
	ds_write2_b32 v20, v30, v35 offset1:1
	ds_write2_b32 v20, v37, v39 offset0:2 offset1:3
	ds_write2_b32 v20, v41, v43 offset0:4 offset1:5
	;; [unrolled: 1-line block ×5, first 2 shown]
	ds_write_b32 v20, v48 offset:48
	v_lshl_add_u32 v50, v44, 2, v51
	v_add_u32_e32 v40, 0x200, v49
	v_add_u32_e32 v41, 0x400, v49
	;; [unrolled: 1-line block ×4, first 2 shown]
	v_lshl_add_u32 v60, v46, 2, v51
	s_waitcnt lgkmcnt(0)
	s_barrier
	ds_read_b32 v52, v50
	ds_read2_b32 v[36:37], v40 offset0:93 offset1:161
	ds_read2_b32 v[30:31], v41 offset0:101 offset1:186
	;; [unrolled: 1-line block ×3, first 2 shown]
	v_lshl_add_u32 v43, v47, 2, v51
	ds_read2_b32 v[32:33], v58 offset0:126 offset1:194
	ds_read_b32 v53, v60
	ds_read_b32 v54, v43
	ds_read_b32 v55, v49 offset:3196
	s_mov_b32 s8, 0x3f62ad3f
	s_mov_b32 s7, 0x3f116cb1
	;; [unrolled: 1-line block ×6, first 2 shown]
	v_cmp_gt_u32_e64 s[0:1], 17, v44
	v_lshlrev_b32_e32 v61, 2, v45
	v_lshlrev_b32_e32 v51, 2, v34
                                        ; implicit-def: $vgpr34
                                        ; implicit-def: $vgpr56
	s_and_saveexec_b64 s[2:3], s[0:1]
	s_cbranch_execz .LBB0_14
; %bb.13:
	v_add3_u32 v48, 0, v61, v51
	v_add_u32_e32 v34, 0x680, v49
	ds_read2_b32 v[34:35], v34 offset0:9 offset1:230
	ds_read_b32 v48, v48
	ds_read_b32 v56, v49 offset:3468
.LBB0_14:
	s_or_b64 exec, exec, s[2:3]
	v_add_f32_e32 v57, v27, v21
	v_add_f32_e32 v57, v23, v57
	;; [unrolled: 1-line block ×11, first 2 shown]
	v_sub_f32_e32 v26, v26, v28
	v_add_f32_e32 v59, v29, v57
	v_mul_f32_e32 v28, 0xbeedf032, v26
	v_mul_f32_e32 v57, 0xbf52af12, v26
	;; [unrolled: 1-line block ×6, first 2 shown]
	v_add_f32_e32 v27, v27, v29
	v_mov_b32_e32 v29, v28
	v_mov_b32_e32 v62, v57
	;; [unrolled: 1-line block ×6, first 2 shown]
	v_sub_f32_e32 v22, v22, v24
	v_fmac_f32_e32 v29, 0x3f62ad3f, v27
	v_fma_f32 v28, v27, s8, -v28
	v_fmac_f32_e32 v62, 0x3f116cb1, v27
	v_fma_f32 v57, v27, s7, -v57
	;; [unrolled: 2-line block ×6, first 2 shown]
	v_add_f32_e32 v23, v23, v25
	v_mul_f32_e32 v24, 0xbf52af12, v22
	v_add_f32_e32 v29, v29, v21
	v_add_f32_e32 v28, v28, v21
	;; [unrolled: 1-line block ×12, first 2 shown]
	v_mov_b32_e32 v25, v24
	v_fma_f32 v24, v23, s7, -v24
	v_mul_f32_e32 v26, 0xbf6f5d39, v22
	v_fmac_f32_e32 v25, 0x3f116cb1, v23
	v_add_f32_e32 v24, v24, v28
	v_mov_b32_e32 v27, v26
	v_fma_f32 v26, v23, s9, -v26
	v_mul_f32_e32 v28, 0xbe750f2a, v22
	v_add_f32_e32 v25, v25, v29
	v_fmac_f32_e32 v27, 0xbeb58ec6, v23
	v_add_f32_e32 v26, v26, v57
	v_mov_b32_e32 v29, v28
	v_fma_f32 v28, v23, s15, -v28
	v_mul_f32_e32 v57, 0x3f29c268, v22
	v_add_f32_e32 v27, v27, v62
	v_add_f32_e32 v28, v28, v63
	v_mov_b32_e32 v62, v57
	v_fma_f32 v57, v23, s14, -v57
	v_mul_f32_e32 v63, 0x3f7e222b, v22
	v_mul_f32_e32 v22, 0x3eedf032, v22
	v_sub_f32_e32 v12, v12, v14
	v_fmac_f32_e32 v29, 0xbf788fa5, v23
	v_add_f32_e32 v57, v57, v65
	v_mov_b32_e32 v65, v22
	v_fma_f32 v22, v23, s8, -v22
	v_add_f32_e32 v13, v13, v15
	v_mul_f32_e32 v14, 0xbf7e222b, v12
	v_add_f32_e32 v29, v29, v64
	v_mov_b32_e32 v64, v63
	v_add_f32_e32 v21, v22, v21
	v_mov_b32_e32 v15, v14
	v_fma_f32 v14, v13, s6, -v14
	v_mul_f32_e32 v22, 0xbe750f2a, v12
	v_fmac_f32_e32 v62, 0xbf3f9e67, v23
	v_fmac_f32_e32 v64, 0x3df6dbef, v23
	v_fma_f32 v63, v23, s6, -v63
	v_fmac_f32_e32 v65, 0x3f62ad3f, v23
	v_fmac_f32_e32 v15, 0x3df6dbef, v13
	v_add_f32_e32 v14, v14, v24
	v_mov_b32_e32 v23, v22
	v_fma_f32 v22, v13, s15, -v22
	v_mul_f32_e32 v24, 0x3f6f5d39, v12
	v_add_f32_e32 v15, v15, v25
	v_fmac_f32_e32 v23, 0xbf788fa5, v13
	v_add_f32_e32 v22, v22, v26
	v_mov_b32_e32 v25, v24
	v_fma_f32 v24, v13, s9, -v24
	v_mul_f32_e32 v26, 0x3eedf032, v12
	v_sub_f32_e32 v8, v8, v10
	v_add_f32_e32 v23, v23, v27
	v_fmac_f32_e32 v25, 0xbeb58ec6, v13
	v_add_f32_e32 v24, v24, v28
	v_mov_b32_e32 v27, v26
	v_fma_f32 v26, v13, s8, -v26
	v_mul_f32_e32 v28, 0xbf52af12, v12
	v_mul_f32_e32 v12, 0xbf29c268, v12
	;; [unrolled: 1-line block ×3, first 2 shown]
	v_add_f32_e32 v25, v25, v29
	v_add_f32_e32 v26, v26, v57
	v_mov_b32_e32 v29, v28
	v_mov_b32_e32 v57, v12
	v_add_f32_e32 v9, v9, v11
	v_mov_b32_e32 v11, v10
	v_fmac_f32_e32 v27, 0x3f62ad3f, v13
	v_fmac_f32_e32 v29, 0x3f116cb1, v13
	v_fma_f32 v28, v13, s7, -v28
	v_fmac_f32_e32 v57, 0xbf3f9e67, v13
	v_fma_f32 v12, v13, s14, -v12
	;; [unrolled: 2-line block ×3, first 2 shown]
	v_mul_f32_e32 v13, 0x3f29c268, v8
	v_add_f32_e32 v11, v11, v15
	v_add_f32_e32 v10, v10, v14
	v_mov_b32_e32 v14, v13
	v_fma_f32 v13, v9, s14, -v13
	v_mul_f32_e32 v15, 0x3eedf032, v8
	v_add_f32_e32 v12, v12, v21
	v_fmac_f32_e32 v14, 0xbf3f9e67, v9
	v_add_f32_e32 v13, v13, v22
	v_mov_b32_e32 v21, v15
	v_fma_f32 v15, v9, s8, -v15
	v_mul_f32_e32 v22, 0xbf7e222b, v8
	v_sub_f32_e32 v4, v4, v6
	v_add_f32_e32 v14, v14, v23
	v_fmac_f32_e32 v21, 0x3f62ad3f, v9
	v_add_f32_e32 v15, v15, v24
	v_mov_b32_e32 v23, v22
	v_fma_f32 v22, v9, s6, -v22
	v_mul_f32_e32 v24, 0x3e750f2a, v8
	v_mul_f32_e32 v8, 0x3f52af12, v8
	;; [unrolled: 1-line block ×3, first 2 shown]
	v_add_f32_e32 v21, v21, v25
	v_add_f32_e32 v22, v22, v26
	v_mov_b32_e32 v25, v24
	v_mov_b32_e32 v26, v8
	v_add_f32_e32 v5, v5, v7
	v_mov_b32_e32 v7, v6
	v_fmac_f32_e32 v23, 0x3df6dbef, v9
	v_fmac_f32_e32 v25, 0xbf788fa5, v9
	v_fma_f32 v24, v9, s15, -v24
	v_fmac_f32_e32 v26, 0x3f116cb1, v9
	v_fma_f32 v8, v9, s7, -v8
	v_fmac_f32_e32 v7, 0xbf3f9e67, v5
	v_fma_f32 v6, v5, s14, -v6
	v_mul_f32_e32 v9, 0x3f7e222b, v4
	v_add_f32_e32 v7, v7, v11
	v_add_f32_e32 v6, v6, v10
	v_mov_b32_e32 v10, v9
	v_fma_f32 v9, v5, s6, -v9
	v_mul_f32_e32 v11, 0xbf52af12, v4
	v_sub_f32_e32 v0, v0, v2
	v_add_f32_e32 v65, v65, v69
	v_add_f32_e32 v8, v8, v12
	v_fmac_f32_e32 v10, 0x3df6dbef, v5
	v_add_f32_e32 v9, v9, v13
	v_mov_b32_e32 v12, v11
	v_fma_f32 v11, v5, s7, -v11
	v_mul_f32_e32 v13, 0x3e750f2a, v4
	v_add_f32_e32 v1, v1, v3
	v_mul_f32_e32 v2, 0xbe750f2a, v0
	v_add_f32_e32 v57, v57, v65
	v_add_f32_e32 v10, v10, v14
	v_fmac_f32_e32 v12, 0x3f116cb1, v5
	v_add_f32_e32 v11, v11, v15
	v_mov_b32_e32 v14, v13
	v_fma_f32 v13, v5, s15, -v13
	v_mul_f32_e32 v15, 0x3eedf032, v4
	v_mul_f32_e32 v4, 0xbf6f5d39, v4
	v_mov_b32_e32 v3, v2
	v_fma_f32 v2, v1, s15, -v2
	v_add_f32_e32 v26, v26, v57
	v_add_f32_e32 v12, v12, v21
	;; [unrolled: 1-line block ×3, first 2 shown]
	v_mov_b32_e32 v21, v15
	v_mov_b32_e32 v22, v4
	v_add_f32_e32 v57, v2, v6
	v_mul_f32_e32 v2, 0x3eedf032, v0
	v_fmac_f32_e32 v14, 0xbf788fa5, v5
	v_fmac_f32_e32 v21, 0x3f62ad3f, v5
	v_fma_f32 v15, v5, s8, -v15
	v_fmac_f32_e32 v22, 0xbeb58ec6, v5
	v_fma_f32 v4, v5, s9, -v4
	v_fmac_f32_e32 v3, 0xbf788fa5, v1
	v_mov_b32_e32 v5, v2
	v_mul_f32_e32 v6, 0xbf29c268, v0
	v_add_f32_e32 v62, v62, v66
	v_add_f32_e32 v64, v64, v68
	;; [unrolled: 1-line block ×4, first 2 shown]
	v_fmac_f32_e32 v5, 0x3f62ad3f, v1
	v_mov_b32_e32 v7, v6
	v_add_f32_e32 v27, v27, v62
	v_add_f32_e32 v29, v29, v64
	;; [unrolled: 1-line block ×5, first 2 shown]
	v_fma_f32 v2, v1, s8, -v2
	v_fmac_f32_e32 v7, 0xbf3f9e67, v1
	v_fma_f32 v6, v1, s14, -v6
	v_mul_f32_e32 v8, 0x3f52af12, v0
	v_mul_f32_e32 v10, 0xbf6f5d39, v0
	;; [unrolled: 1-line block ×3, first 2 shown]
	v_add_f32_e32 v23, v23, v27
	v_add_f32_e32 v25, v25, v29
	;; [unrolled: 1-line block ×6, first 2 shown]
	v_mov_b32_e32 v9, v8
	v_mov_b32_e32 v11, v10
	;; [unrolled: 1-line block ×3, first 2 shown]
	v_add_f32_e32 v14, v14, v23
	v_add_f32_e32 v21, v21, v25
	;; [unrolled: 1-line block ×4, first 2 shown]
	v_fmac_f32_e32 v9, 0x3f116cb1, v1
	v_fma_f32 v8, v1, s7, -v8
	v_fmac_f32_e32 v11, 0xbeb58ec6, v1
	v_fma_f32 v10, v1, s9, -v10
	;; [unrolled: 2-line block ×3, first 2 shown]
	v_add_f32_e32 v9, v9, v14
	v_add_f32_e32 v8, v8, v13
	;; [unrolled: 1-line block ×6, first 2 shown]
	s_waitcnt lgkmcnt(0)
	s_barrier
	ds_write2_b32 v20, v59, v3 offset1:1
	ds_write2_b32 v20, v5, v7 offset0:2 offset1:3
	ds_write2_b32 v20, v9, v11 offset0:4 offset1:5
	;; [unrolled: 1-line block ×5, first 2 shown]
	ds_write_b32 v20, v57 offset:48
	s_waitcnt lgkmcnt(0)
	s_barrier
	ds_read_b32 v59, v50
	ds_read2_b32 v[22:23], v40 offset0:93 offset1:161
	ds_read2_b32 v[40:41], v41 offset0:101 offset1:186
	;; [unrolled: 1-line block ×4, first 2 shown]
	ds_read_b32 v58, v60
	ds_read_b32 v60, v43
	ds_read_b32 v24, v49 offset:3196
                                        ; implicit-def: $vgpr42
                                        ; implicit-def: $vgpr25
	s_and_saveexec_b64 s[2:3], s[0:1]
	s_cbranch_execz .LBB0_16
; %bb.15:
	v_add_u32_e32 v1, 0x680, v49
	v_add3_u32 v0, 0, v61, v51
	ds_read2_b32 v[42:43], v1 offset0:9 offset1:230
	ds_read_b32 v57, v0
	ds_read_b32 v25, v49 offset:3468
.LBB0_16:
	s_or_b64 exec, exec, s[2:3]
	s_movk_i32 s6, 0x4f
	v_mul_lo_u16_sdwa v0, v44, s6 dst_sel:DWORD dst_unused:UNUSED_PAD src0_sel:BYTE_0 src1_sel:DWORD
	v_lshrrev_b16_e32 v69, 10, v0
	v_mul_lo_u16_e32 v0, 13, v69
	v_sub_u16_e32 v70, v44, v0
	v_mov_b32_e32 v8, 3
	v_mul_u32_u24_sdwa v0, v70, v8 dst_sel:DWORD dst_unused:UNUSED_PAD src0_sel:BYTE_0 src1_sel:DWORD
	v_lshlrev_b32_e32 v4, 3, v0
	global_load_dwordx2 v[26:27], v4, s[12:13] offset:16
	global_load_dwordx4 v[0:3], v4, s[12:13]
	v_mul_lo_u16_sdwa v4, v47, s6 dst_sel:DWORD dst_unused:UNUSED_PAD src0_sel:BYTE_0 src1_sel:DWORD
	v_lshrrev_b16_e32 v71, 10, v4
	v_mul_lo_u16_e32 v4, 13, v71
	v_sub_u16_e32 v72, v47, v4
	v_mul_u32_u24_sdwa v4, v72, v8 dst_sel:DWORD dst_unused:UNUSED_PAD src0_sel:BYTE_0 src1_sel:DWORD
	v_lshlrev_b32_e32 v9, 3, v4
	global_load_dwordx2 v[63:64], v9, s[12:13] offset:16
	global_load_dwordx4 v[4:7], v9, s[12:13]
	v_mul_lo_u16_sdwa v9, v46, s6 dst_sel:DWORD dst_unused:UNUSED_PAD src0_sel:BYTE_0 src1_sel:DWORD
	v_lshrrev_b16_e32 v73, 10, v9
	v_mul_lo_u16_e32 v9, 13, v73
	v_sub_u16_e32 v74, v46, v9
	v_mul_u32_u24_sdwa v8, v74, v8 dst_sel:DWORD dst_unused:UNUSED_PAD src0_sel:BYTE_0 src1_sel:DWORD
	v_lshlrev_b32_e32 v12, 3, v8
	s_movk_i32 s2, 0x4ec5
	global_load_dwordx2 v[65:66], v12, s[12:13] offset:16
	global_load_dwordx4 v[8:11], v12, s[12:13]
	v_mul_u32_u24_sdwa v12, v45, s2 dst_sel:DWORD dst_unused:UNUSED_PAD src0_sel:WORD_0 src1_sel:DWORD
	v_lshrrev_b32_e32 v12, 18, v12
	v_mul_lo_u16_e32 v12, 13, v12
	v_sub_u16_e32 v75, v45, v12
	v_mul_u32_u24_e32 v12, 3, v75
	v_lshlrev_b32_e32 v46, 3, v12
	global_load_dwordx4 v[12:15], v46, s[12:13]
	global_load_dwordx2 v[67:68], v46, s[12:13] offset:16
	s_movk_i32 s7, 0xd0
	s_waitcnt vmcnt(0) lgkmcnt(0)
	s_barrier
	v_mul_f32_e32 v77, v20, v27
	v_mul_f32_e32 v76, v22, v1
	;; [unrolled: 1-line block ×5, first 2 shown]
	v_fma_f32 v38, v38, v26, -v77
	v_fmac_f32_e32 v27, v20, v26
	v_mul_f32_e32 v79, v21, v64
	v_mul_f32_e32 v78, v23, v5
	;; [unrolled: 1-line block ×5, first 2 shown]
	v_fma_f32 v20, v36, v0, -v76
	v_fmac_f32_e32 v62, v22, v0
	v_fma_f32 v0, v31, v2, -v1
	v_mul_f32_e32 v81, v24, v66
	v_mul_f32_e32 v80, v40, v9
	;; [unrolled: 1-line block ×5, first 2 shown]
	v_fma_f32 v1, v37, v4, -v78
	v_fmac_f32_e32 v61, v23, v4
	v_mul_f32_e32 v82, v42, v13
	v_mul_f32_e32 v46, v34, v13
	;; [unrolled: 1-line block ×5, first 2 shown]
	v_fma_f32 v4, v32, v6, -v5
	v_fma_f32 v5, v39, v63, -v79
	v_fmac_f32_e32 v64, v21, v63
	v_fma_f32 v26, v30, v8, -v80
	v_fmac_f32_e32 v47, v40, v8
	v_fma_f32 v13, v35, v14, -v13
	v_sub_f32_e32 v8, v52, v0
	v_sub_f32_e32 v30, v20, v38
	v_fma_f32 v39, v33, v10, -v9
	v_fma_f32 v40, v55, v65, -v81
	v_fmac_f32_e32 v66, v24, v65
	v_fma_f32 v24, v34, v12, -v82
	v_fmac_f32_e32 v46, v42, v12
	;; [unrolled: 2-line block ×3, first 2 shown]
	v_sub_f32_e32 v36, v62, v27
	v_sub_f32_e32 v4, v54, v4
	;; [unrolled: 1-line block ×4, first 2 shown]
	v_fma_f32 v5, v52, 2.0, -v8
	v_fma_f32 v9, v20, 2.0, -v30
	v_sub_f32_e32 v27, v48, v13
	v_sub_f32_e32 v20, v8, v36
	;; [unrolled: 1-line block ×5, first 2 shown]
	v_fma_f32 v13, v48, 2.0, -v27
	v_sub_f32_e32 v42, v24, v42
	v_sub_f32_e32 v48, v46, v68
	v_fma_f32 v12, v54, 2.0, -v4
	v_fma_f32 v1, v1, 2.0, -v34
	;; [unrolled: 1-line block ×5, first 2 shown]
	v_sub_f32_e32 v4, v53, v39
	v_fma_f32 v5, v26, 2.0, -v40
	v_fma_f32 v24, v24, 2.0, -v42
	v_sub_f32_e32 v26, v27, v48
	v_mov_b32_e32 v39, 2
	v_sub_f32_e32 v9, v12, v1
	v_fma_f32 v1, v53, 2.0, -v4
	v_sub_f32_e32 v25, v13, v24
	v_fma_f32 v24, v27, 2.0, -v26
	v_mad_u32_u24 v27, v69, s7, 0
	v_lshlrev_b32_sdwa v53, v39, v70 dst_sel:DWORD dst_unused:UNUSED_PAD src0_sel:DWORD src1_sel:BYTE_0
	v_sub_f32_e32 v52, v47, v66
	v_add3_u32 v54, v27, v53, v51
	v_mad_u32_u24 v27, v71, s7, 0
	v_lshlrev_b32_sdwa v53, v39, v72 dst_sel:DWORD dst_unused:UNUSED_PAD src0_sel:DWORD src1_sel:BYTE_0
	v_fma_f32 v21, v12, 2.0, -v9
	v_sub_f32_e32 v5, v1, v5
	v_sub_f32_e32 v12, v4, v52
	v_add3_u32 v55, v27, v53, v51
	v_mad_u32_u24 v27, v73, s7, 0
	v_lshlrev_b32_sdwa v39, v39, v74 dst_sel:DWORD dst_unused:UNUSED_PAD src0_sel:DWORD src1_sel:BYTE_0
	v_fma_f32 v1, v1, 2.0, -v5
	v_fma_f32 v4, v4, 2.0, -v12
	;; [unrolled: 1-line block ×3, first 2 shown]
	v_add3_u32 v56, v27, v39, v51
	v_lshlrev_b32_e32 v53, 2, v75
	ds_write2_b32 v54, v38, v22 offset1:13
	ds_write2_b32 v54, v23, v20 offset0:26 offset1:39
	ds_write2_b32 v55, v21, v8 offset1:13
	ds_write2_b32 v55, v9, v0 offset0:26 offset1:39
	;; [unrolled: 2-line block ×3, first 2 shown]
	s_and_saveexec_b64 s[2:3], s[0:1]
	s_cbranch_execz .LBB0_18
; %bb.17:
	v_mul_lo_u16_sdwa v27, v45, s6 dst_sel:DWORD dst_unused:UNUSED_PAD src0_sel:BYTE_0 src1_sel:DWORD
	v_lshrrev_b16_e32 v27, 10, v27
	v_mad_u32_u24 v27, v27, s7, 0
	v_add3_u32 v27, v27, v53, v51
	ds_write2_b32 v27, v13, v24 offset1:13
	ds_write2_b32 v27, v25, v26 offset0:26 offset1:39
.LBB0_18:
	s_or_b64 exec, exec, s[2:3]
	v_cmp_gt_u32_e64 s[2:3], 52, v44
	s_waitcnt lgkmcnt(0)
	s_barrier
	s_and_saveexec_b64 s[6:7], s[2:3]
	s_cbranch_execz .LBB0_20
; %bb.19:
	ds_read_b32 v38, v50
	ds_read2_b32 v[22:23], v49 offset0:52 offset1:104
	ds_read2_b32 v[20:21], v49 offset0:156 offset1:208
	v_add_u32_e32 v0, 0x400, v49
	v_add_u32_e32 v4, 0x600, v49
	v_add_u32_e32 v24, 0x800, v49
	v_add_u32_e32 v26, 0xc00, v49
	ds_read2_b32 v[8:9], v0 offset0:4 offset1:56
	ds_read2_b32 v[0:1], v0 offset0:108 offset1:160
	;; [unrolled: 1-line block ×6, first 2 shown]
.LBB0_20:
	s_or_b64 exec, exec, s[6:7]
	v_mul_f32_e32 v3, v31, v3
	v_fmac_f32_e32 v3, v41, v2
	v_mul_f32_e32 v2, v32, v7
	v_mul_f32_e32 v7, v33, v11
	v_sub_f32_e32 v3, v59, v3
	v_fmac_f32_e32 v2, v28, v6
	v_fmac_f32_e32 v7, v29, v10
	v_fma_f32 v6, v59, 2.0, -v3
	v_fma_f32 v10, v62, 2.0, -v36
	v_sub_f32_e32 v33, v6, v10
	v_add_f32_e32 v30, v3, v30
	v_sub_f32_e32 v2, v60, v2
	v_fma_f32 v39, v6, 2.0, -v33
	v_fma_f32 v32, v3, 2.0, -v30
	v_fma_f32 v3, v60, 2.0, -v2
	v_fma_f32 v6, v61, 2.0, -v37
	v_mul_f32_e32 v29, v35, v15
	v_sub_f32_e32 v15, v3, v6
	v_add_f32_e32 v6, v2, v34
	v_fmac_f32_e32 v29, v43, v14
	v_fma_f32 v14, v2, 2.0, -v6
	v_sub_f32_e32 v2, v58, v7
	v_fma_f32 v31, v3, 2.0, -v15
	v_fma_f32 v3, v58, 2.0, -v2
	;; [unrolled: 1-line block ×3, first 2 shown]
	v_add_f32_e32 v28, v2, v40
	v_sub_f32_e32 v11, v3, v7
	v_fma_f32 v10, v2, 2.0, -v28
	v_sub_f32_e32 v2, v57, v29
	v_fma_f32 v7, v3, 2.0, -v11
	v_fma_f32 v3, v57, 2.0, -v2
	;; [unrolled: 1-line block ×3, first 2 shown]
	v_sub_f32_e32 v35, v3, v29
	v_add_f32_e32 v36, v2, v42
	v_fma_f32 v29, v3, 2.0, -v35
	v_fma_f32 v34, v2, 2.0, -v36
	s_waitcnt lgkmcnt(0)
	s_barrier
	ds_write2_b32 v54, v39, v32 offset1:13
	ds_write2_b32 v54, v33, v30 offset0:26 offset1:39
	ds_write2_b32 v55, v31, v14 offset1:13
	ds_write2_b32 v55, v15, v6 offset0:26 offset1:39
	;; [unrolled: 2-line block ×3, first 2 shown]
	s_and_saveexec_b64 s[6:7], s[0:1]
	s_cbranch_execz .LBB0_22
; %bb.21:
	s_movk_i32 s0, 0x4f
	v_mul_lo_u16_sdwa v2, v45, s0 dst_sel:DWORD dst_unused:UNUSED_PAD src0_sel:BYTE_0 src1_sel:DWORD
	v_lshrrev_b16_e32 v2, 10, v2
	s_movk_i32 s0, 0xd0
	v_mad_u32_u24 v2, v2, s0, 0
	v_add3_u32 v2, v2, v53, v51
	ds_write2_b32 v2, v29, v34 offset1:13
	ds_write2_b32 v2, v35, v36 offset0:26 offset1:39
.LBB0_22:
	s_or_b64 exec, exec, s[6:7]
	s_waitcnt lgkmcnt(0)
	s_barrier
	s_and_saveexec_b64 s[0:1], s[2:3]
	s_cbranch_execz .LBB0_24
; %bb.23:
	v_add_u32_e32 v2, 0x400, v49
	ds_read_b32 v39, v50
	ds_read2_b32 v[32:33], v49 offset0:52 offset1:104
	ds_read2_b32 v[30:31], v49 offset0:156 offset1:208
	;; [unrolled: 1-line block ×4, first 2 shown]
	v_add_u32_e32 v2, 0x600, v49
	ds_read2_b32 v[10:11], v2 offset0:84 offset1:136
	v_add_u32_e32 v2, 0x800, v49
	ds_read2_b32 v[28:29], v2 offset0:60 offset1:112
	ds_read2_b32 v[34:35], v2 offset0:164 offset1:216
	v_add_u32_e32 v2, 0xc00, v49
	ds_read2_b32 v[36:37], v2 offset0:12 offset1:64
.LBB0_24:
	s_or_b64 exec, exec, s[0:1]
	v_cmp_gt_u32_e64 s[0:1], 52, v44
	s_and_b64 s[0:1], vcc, s[0:1]
	s_and_saveexec_b64 s[6:7], s[0:1]
	s_cbranch_execz .LBB0_26
; %bb.25:
	v_lshlrev_b32_e32 v2, 4, v44
	v_add_u32_e32 v3, 0xfffffcc0, v2
	v_cndmask_b32_e64 v2, v3, v2, s[2:3]
	v_mov_b32_e32 v3, 0
	v_lshlrev_b64 v[2:3], 3, v[2:3]
	v_mov_b32_e32 v41, s13
	v_add_co_u32_e32 v40, vcc, s12, v2
	v_addc_co_u32_e32 v41, vcc, v41, v3, vcc
	global_load_dwordx4 v[47:50], v[40:41], off offset:424
	global_load_dwordx4 v[54:57], v[40:41], off offset:312
	global_load_dwordx4 v[58:61], v[40:41], off offset:408
	global_load_dwordx4 v[62:65], v[40:41], off offset:328
	global_load_dwordx4 v[72:75], v[40:41], off offset:392
	global_load_dwordx4 v[76:79], v[40:41], off offset:344
	global_load_dwordx4 v[80:83], v[40:41], off offset:376
	global_load_dwordx4 v[94:97], v[40:41], off offset:360
	v_mul_lo_u32 v42, s5, v18
	v_mul_lo_u32 v19, s4, v19
	v_mad_u64_u32 v[2:3], s[0:1], s4, v18, 0
	s_mov_b32 s6, 0x3ee437d1
	s_mov_b32 s3, 0xbf1a4643
	v_add3_u32 v3, v3, v19, v42
	s_mov_b32 s0, 0xbf7ba420
	s_mov_b32 s5, 0xbe8c1d8e
	;; [unrolled: 1-line block ×6, first 2 shown]
	v_lshlrev_b64 v[2:3], 3, v[2:3]
	s_waitcnt vmcnt(7) lgkmcnt(0)
	v_mul_f32_e32 v40, v37, v49
	s_waitcnt vmcnt(6)
	v_mul_f32_e32 v41, v32, v54
	v_mul_f32_e32 v18, v32, v55
	;; [unrolled: 1-line block ×6, first 2 shown]
	s_waitcnt vmcnt(4)
	v_mul_f32_e32 v36, v30, v62
	v_mul_f32_e32 v52, v30, v63
	v_fmac_f32_e32 v41, v22, v55
	v_fmac_f32_e32 v40, v27, v50
	v_mul_f32_e32 v42, v33, v57
	v_mul_f32_e32 v33, v35, v60
	;; [unrolled: 1-line block ×5, first 2 shown]
	v_fmac_f32_e32 v37, v23, v57
	v_fma_f32 v27, v27, v49, -v19
	v_fmac_f32_e32 v32, v26, v48
	v_fmac_f32_e32 v36, v20, v63
	v_fma_f32 v49, v20, v62, -v52
	v_add_f32_e32 v20, v40, v41
	v_mul_f32_e32 v30, v34, v58
	v_mul_f32_e32 v68, v34, v59
	s_waitcnt vmcnt(2)
	v_mul_f32_e32 v34, v14, v76
	v_mul_f32_e32 v14, v14, v77
	v_fma_f32 v43, v22, v54, -v18
	v_fmac_f32_e32 v35, v21, v65
	v_fma_f32 v54, v21, v64, -v67
	v_add_f32_e32 v21, v32, v37
	v_mul_f32_e32 v91, 0x3ee437d1, v20
	v_mul_f32_e32 v31, v29, v74
	;; [unrolled: 1-line block ×3, first 2 shown]
	v_fma_f32 v45, v23, v56, -v42
	v_fma_f32 v29, v26, v47, -v51
	v_fmac_f32_e32 v34, v8, v77
	v_fma_f32 v57, v8, v76, -v14
	v_sub_f32_e32 v71, v43, v27
	v_mul_f32_e32 v90, 0xbf1a4643, v21
	v_mov_b32_e32 v8, v91
	v_fmac_f32_e32 v31, v13, v75
	v_fma_f32 v50, v13, v74, -v69
	v_sub_f32_e32 v70, v45, v29
	v_mov_b32_e32 v13, v90
	v_fmac_f32_e32 v8, 0x3f65296c, v71
	v_fmac_f32_e32 v13, 0x3f4c4adb, v70
	v_add_f32_e32 v8, v39, v8
	s_waitcnt vmcnt(0)
	v_mul_f32_e32 v69, v6, v94
	v_mul_f32_e32 v6, v6, v95
	;; [unrolled: 1-line block ×3, first 2 shown]
	v_add_f32_e32 v8, v8, v13
	v_mul_f32_e32 v13, v15, v79
	v_mul_f32_e32 v65, v11, v82
	v_fmac_f32_e32 v69, v0, v95
	v_fma_f32 v64, v0, v94, -v6
	v_mul_f32_e32 v0, v11, v83
	v_fmac_f32_e32 v53, v9, v79
	v_fma_f32 v62, v9, v78, -v13
	;; [unrolled: 3-line block ×3, first 2 shown]
	v_mul_f32_e32 v75, v7, v96
	v_mul_f32_e32 v5, v7, v97
	v_sub_f32_e32 v78, v41, v40
	v_mul_f32_e32 v46, v28, v72
	v_fmac_f32_e32 v33, v25, v61
	v_fma_f32 v61, v12, v72, -v9
	v_fmac_f32_e32 v75, v1, v97
	v_fma_f32 v72, v1, v96, -v5
	v_mul_f32_e32 v1, v10, v81
	v_mul_f32_e32 v94, 0xbf65296c, v78
	v_sub_f32_e32 v79, v37, v32
	v_fmac_f32_e32 v46, v12, v73
	v_mul_f32_e32 v74, v10, v80
	v_fma_f32 v73, v4, v80, -v1
	v_add_f32_e32 v28, v27, v43
	v_mov_b32_e32 v1, v94
	v_mul_f32_e32 v95, 0xbf4c4adb, v79
	v_fmac_f32_e32 v74, v4, v81
	v_fmac_f32_e32 v1, 0x3ee437d1, v28
	v_add_f32_e32 v48, v29, v45
	v_mov_b32_e32 v4, v95
	v_sub_f32_e32 v80, v36, v33
	v_fma_f32 v42, v25, v60, -v66
	v_fmac_f32_e32 v30, v24, v59
	v_add_f32_e32 v1, v38, v1
	v_fmac_f32_e32 v4, 0xbf1a4643, v48
	v_mul_f32_e32 v96, 0x3e3c28d5, v80
	v_add_f32_e32 v1, v1, v4
	v_add_f32_e32 v51, v42, v49
	v_mov_b32_e32 v4, v96
	v_sub_f32_e32 v81, v35, v30
	v_fma_f32 v47, v24, v58, -v68
	v_fmac_f32_e32 v4, 0xbf7ba420, v51
	v_mul_f32_e32 v97, 0x3f763a35, v81
	v_add_f32_e32 v1, v1, v4
	v_add_f32_e32 v55, v47, v54
	v_mov_b32_e32 v4, v97
	v_sub_f32_e32 v82, v34, v31
	v_add_f32_e32 v22, v33, v36
	v_fmac_f32_e32 v4, 0xbe8c1d8e, v55
	v_mul_f32_e32 v98, 0x3f2c7751, v82
	v_add_f32_e32 v23, v30, v35
	v_mul_f32_e32 v89, 0xbf7ba420, v22
	v_add_f32_e32 v1, v1, v4
	v_add_f32_e32 v58, v50, v57
	v_mov_b32_e32 v4, v98
	v_sub_f32_e32 v83, v53, v46
	v_sub_f32_e32 v68, v49, v42
	v_add_f32_e32 v24, v31, v34
	v_mul_f32_e32 v88, 0xbe8c1d8e, v23
	v_mov_b32_e32 v14, v89
	v_fmac_f32_e32 v4, 0x3f3d2fb0, v58
	v_mul_f32_e32 v99, 0xbeb8f4ab, v83
	v_sub_f32_e32 v67, v54, v47
	v_add_f32_e32 v25, v46, v53
	v_mul_f32_e32 v87, 0x3f3d2fb0, v24
	v_mov_b32_e32 v18, v88
	v_fmac_f32_e32 v14, 0xbe3c28d5, v68
	v_add_f32_e32 v1, v1, v4
	v_add_f32_e32 v52, v61, v62
	v_mov_b32_e32 v4, v99
	v_sub_f32_e32 v84, v69, v65
	v_sub_f32_e32 v66, v57, v50
	v_mov_b32_e32 v19, v87
	v_fmac_f32_e32 v18, 0xbf763a35, v67
	v_add_f32_e32 v8, v8, v14
	v_mul_f32_e32 v92, 0x3f6eb680, v25
	v_add_f32_e32 v26, v65, v69
	v_fmac_f32_e32 v4, 0x3f6eb680, v52
	v_mul_f32_e32 v100, 0xbf7ee86f, v84
	v_fmac_f32_e32 v19, 0xbf2c7751, v66
	v_add_f32_e32 v8, v8, v18
	v_sub_f32_e32 v76, v62, v61
	v_mov_b32_e32 v9, v92
	v_mul_f32_e32 v93, 0x3dbcf732, v26
	v_add_f32_e32 v1, v1, v4
	v_add_f32_e32 v56, v63, v64
	v_mov_b32_e32 v4, v100
	v_add_f32_e32 v60, v74, v75
	v_add_f32_e32 v8, v8, v19
	v_fmac_f32_e32 v9, 0x3eb8f4ab, v76
	v_sub_f32_e32 v77, v64, v63
	v_mov_b32_e32 v0, v93
	v_fmac_f32_e32 v4, 0x3dbcf732, v56
	v_mul_f32_e32 v101, 0xbf59a7d5, v60
	v_add_f32_e32 v8, v8, v9
	v_fmac_f32_e32 v0, 0x3f7ee86f, v77
	v_add_f32_e32 v4, v1, v4
	v_sub_f32_e32 v85, v72, v73
	v_mov_b32_e32 v1, v101
	v_sub_f32_e32 v86, v75, v74
	v_add_f32_e32 v0, v8, v0
	v_fmac_f32_e32 v1, 0x3f06c442, v85
	v_mul_f32_e32 v102, 0xbf06c442, v86
	v_add_f32_e32 v1, v0, v1
	v_add_f32_e32 v59, v73, v72
	v_mov_b32_e32 v0, v102
	v_fmac_f32_e32 v0, 0xbf59a7d5, v59
	v_mul_f32_e32 v105, 0x3dbcf732, v20
	v_add_f32_e32 v0, v4, v0
	v_mov_b32_e32 v4, v105
	v_mul_f32_e32 v106, 0xbf7ba420, v21
	v_fmac_f32_e32 v4, 0x3f7ee86f, v71
	v_mov_b32_e32 v5, v106
	v_add_f32_e32 v4, v39, v4
	v_fmac_f32_e32 v5, 0x3e3c28d5, v70
	v_mul_f32_e32 v107, 0xbe8c1d8e, v22
	v_add_f32_e32 v4, v4, v5
	v_mov_b32_e32 v5, v107
	v_fmac_f32_e32 v5, 0xbf763a35, v68
	v_mul_f32_e32 v108, 0x3f6eb680, v23
	v_add_f32_e32 v4, v4, v5
	v_mov_b32_e32 v5, v108
	;; [unrolled: 4-line block ×6, first 2 shown]
	v_mul_f32_e32 v113, 0xbe3c28d5, v79
	v_fmac_f32_e32 v5, 0x3dbcf732, v28
	v_mov_b32_e32 v6, v113
	v_add_f32_e32 v5, v38, v5
	v_fmac_f32_e32 v6, 0xbf7ba420, v48
	v_mul_f32_e32 v114, 0x3f763a35, v80
	v_add_f32_e32 v5, v5, v6
	v_mov_b32_e32 v6, v114
	v_fmac_f32_e32 v6, 0xbe8c1d8e, v51
	v_mul_f32_e32 v115, 0x3eb8f4ab, v81
	v_add_f32_e32 v5, v5, v6
	v_mov_b32_e32 v6, v115
	;; [unrolled: 4-line block ×8, first 2 shown]
	v_mul_f32_e32 v104, 0xbf59a7d5, v21
	v_fmac_f32_e32 v6, 0x3f763a35, v71
	v_mov_b32_e32 v7, v104
	v_add_f32_e32 v6, v39, v6
	v_fmac_f32_e32 v7, 0xbf06c442, v70
	v_mul_f32_e32 v121, 0x3f3d2fb0, v22
	v_add_f32_e32 v6, v6, v7
	v_mov_b32_e32 v7, v121
	v_fmac_f32_e32 v7, 0xbf2c7751, v68
	v_mul_f32_e32 v122, 0x3ee437d1, v23
	v_add_f32_e32 v6, v6, v7
	v_mov_b32_e32 v7, v122
	;; [unrolled: 4-line block ×6, first 2 shown]
	v_mul_f32_e32 v127, 0x3f06c442, v79
	v_fmac_f32_e32 v7, 0xbe8c1d8e, v28
	v_mov_b32_e32 v8, v127
	v_add_f32_e32 v7, v38, v7
	v_fmac_f32_e32 v8, 0xbf59a7d5, v48
	v_mul_f32_e32 v128, 0x3f2c7751, v80
	v_add_f32_e32 v7, v7, v8
	v_mov_b32_e32 v8, v128
	v_fmac_f32_e32 v8, 0x3f3d2fb0, v51
	v_mul_f32_e32 v129, 0xbf65296c, v81
	v_add_f32_e32 v7, v7, v8
	v_mov_b32_e32 v8, v129
	;; [unrolled: 4-line block ×8, first 2 shown]
	v_mul_f32_e32 v15, 0x3ee437d1, v21
	v_fmac_f32_e32 v8, 0x3f06c442, v71
	v_mov_b32_e32 v9, v15
	v_add_f32_e32 v8, v39, v8
	v_fmac_f32_e32 v9, 0xbf65296c, v70
	v_mul_f32_e32 v18, 0x3dbcf732, v22
	v_add_f32_e32 v8, v8, v9
	v_mov_b32_e32 v9, v18
	v_fmac_f32_e32 v9, 0x3f7ee86f, v68
	v_mul_f32_e32 v19, 0xbf1a4643, v23
	v_add_f32_e32 v8, v8, v9
	v_mov_b32_e32 v9, v19
	v_fmac_f32_e32 v91, 0xbf65296c, v71
	v_fmac_f32_e32 v9, 0xbf4c4adb, v67
	v_mul_f32_e32 v135, 0x3f6eb680, v24
	v_add_f32_e32 v91, v39, v91
	v_fmac_f32_e32 v90, 0xbf4c4adb, v70
	v_add_f32_e32 v8, v8, v9
	v_mov_b32_e32 v9, v135
	v_add_f32_e32 v90, v91, v90
	v_fmac_f32_e32 v89, 0x3e3c28d5, v68
	v_fmac_f32_e32 v9, 0x3eb8f4ab, v66
	v_mul_f32_e32 v136, 0xbf7ba420, v25
	v_add_f32_e32 v89, v90, v89
	v_fmac_f32_e32 v88, 0x3f763a35, v67
	v_add_f32_e32 v8, v8, v9
	v_mov_b32_e32 v9, v136
	v_add_f32_e32 v88, v89, v88
	v_fmac_f32_e32 v87, 0x3f2c7751, v66
	v_fmac_f32_e32 v9, 0x3e3c28d5, v76
	v_mul_f32_e32 v137, 0x3f3d2fb0, v26
	v_add_f32_e32 v87, v88, v87
	v_fma_f32 v88, v28, s6, -v94
	v_add_f32_e32 v8, v8, v9
	v_mov_b32_e32 v9, v137
	v_add_f32_e32 v88, v38, v88
	v_fma_f32 v89, v48, s3, -v95
	v_fmac_f32_e32 v9, 0xbf2c7751, v77
	v_mul_f32_e32 v138, 0xbf06c442, v78
	v_add_f32_e32 v88, v88, v89
	v_fma_f32 v89, v51, s0, -v96
	v_add_f32_e32 v8, v8, v9
	v_mov_b32_e32 v9, v138
	v_mul_f32_e32 v139, 0x3f65296c, v79
	v_add_f32_e32 v88, v88, v89
	v_fma_f32 v89, v55, s5, -v97
	v_fmac_f32_e32 v9, 0xbf59a7d5, v28
	v_mov_b32_e32 v10, v139
	v_fmac_f32_e32 v92, 0xbeb8f4ab, v76
	v_add_f32_e32 v88, v88, v89
	v_fma_f32 v89, v58, s4, -v98
	v_add_f32_e32 v9, v38, v9
	v_fmac_f32_e32 v10, 0x3ee437d1, v48
	v_mul_f32_e32 v140, 0xbf7ee86f, v80
	v_add_f32_e32 v87, v87, v92
	v_fmac_f32_e32 v93, 0xbf7ee86f, v77
	v_add_f32_e32 v88, v88, v89
	v_fma_f32 v89, v52, s2, -v99
	v_add_f32_e32 v9, v9, v10
	v_mov_b32_e32 v10, v140
	v_add_f32_e32 v87, v87, v93
	v_add_f32_e32 v88, v88, v89
	v_fma_f32 v89, v56, s7, -v100
	v_fmac_f32_e32 v101, 0xbf06c442, v85
	v_fmac_f32_e32 v10, 0x3dbcf732, v51
	v_mul_f32_e32 v141, 0x3f4c4adb, v81
	v_add_f32_e32 v89, v88, v89
	v_add_f32_e32 v88, v87, v101
	v_fma_f32 v87, v59, s1, -v102
	v_mul_f32_e32 v91, 0xbf2c7751, v71
	v_add_f32_e32 v9, v9, v10
	v_mov_b32_e32 v10, v141
	v_add_f32_e32 v87, v89, v87
	v_mov_b32_e32 v89, v91
	v_mul_f32_e32 v92, 0xbf7ee86f, v70
	v_fmac_f32_e32 v10, 0xbf1a4643, v55
	v_mul_f32_e32 v142, 0xbeb8f4ab, v82
	v_fmac_f32_e32 v89, 0x3f3d2fb0, v20
	v_mov_b32_e32 v90, v92
	v_add_f32_e32 v9, v9, v10
	v_mov_b32_e32 v10, v142
	v_add_f32_e32 v89, v39, v89
	v_fmac_f32_e32 v90, 0x3dbcf732, v21
	v_mul_f32_e32 v93, 0xbf4c4adb, v68
	v_fmac_f32_e32 v10, 0x3f6eb680, v58
	v_mul_f32_e32 v143, 0xbe3c28d5, v83
	v_add_f32_e32 v89, v89, v90
	v_mov_b32_e32 v90, v93
	v_add_f32_e32 v9, v9, v10
	v_mov_b32_e32 v10, v143
	v_fmac_f32_e32 v90, 0xbf1a4643, v22
	v_mul_f32_e32 v94, 0xbe3c28d5, v67
	v_fmac_f32_e32 v10, 0xbf7ba420, v52
	v_mul_f32_e32 v144, 0x3f2c7751, v84
	v_add_f32_e32 v89, v89, v90
	v_mov_b32_e32 v90, v94
	v_add_f32_e32 v9, v9, v10
	v_mov_b32_e32 v10, v144
	;; [unrolled: 8-line block ×3, first 2 shown]
	v_fmac_f32_e32 v90, 0xbf59a7d5, v24
	v_mul_f32_e32 v96, 0x3f763a35, v76
	v_add_f32_e32 v41, v39, v41
	v_fmac_f32_e32 v9, 0x3f763a35, v85
	v_mul_f32_e32 v146, 0xbf763a35, v86
	v_add_f32_e32 v89, v89, v90
	v_mov_b32_e32 v90, v96
	v_add_f32_e32 v37, v41, v37
	v_add_f32_e32 v9, v8, v9
	v_mov_b32_e32 v8, v146
	v_fmac_f32_e32 v105, 0xbf7ee86f, v71
	v_fmac_f32_e32 v90, 0xbe8c1d8e, v25
	v_mul_f32_e32 v97, 0x3f65296c, v77
	v_add_f32_e32 v36, v37, v36
	v_fmac_f32_e32 v8, 0xbe8c1d8e, v59
	v_mul_f32_e32 v12, 0xbf7ba420, v20
	v_add_f32_e32 v105, v39, v105
	v_fmac_f32_e32 v106, 0xbe3c28d5, v70
	v_add_f32_e32 v89, v89, v90
	v_mov_b32_e32 v90, v97
	v_add_f32_e32 v35, v36, v35
	v_add_f32_e32 v8, v10, v8
	v_mov_b32_e32 v10, v12
	v_mul_f32_e32 v13, 0x3f6eb680, v21
	v_add_f32_e32 v105, v105, v106
	v_fmac_f32_e32 v107, 0x3f763a35, v68
	v_fma_f32 v106, v28, s7, -v112
	v_fmac_f32_e32 v90, 0x3ee437d1, v26
	v_mul_f32_e32 v98, 0xbf2c7751, v78
	v_add_f32_e32 v34, v35, v34
	v_fmac_f32_e32 v10, 0x3e3c28d5, v71
	v_mov_b32_e32 v11, v13
	v_add_f32_e32 v105, v105, v107
	v_add_f32_e32 v106, v38, v106
	v_fma_f32 v107, v48, s0, -v113
	v_add_f32_e32 v89, v89, v90
	v_fma_f32 v90, v28, s4, -v98
	v_mul_f32_e32 v99, 0xbf7ee86f, v79
	v_add_f32_e32 v34, v34, v53
	v_add_f32_e32 v10, v39, v10
	v_fmac_f32_e32 v11, 0xbeb8f4ab, v70
	v_mul_f32_e32 v147, 0xbf59a7d5, v22
	v_fmac_f32_e32 v108, 0x3eb8f4ab, v67
	v_add_f32_e32 v106, v106, v107
	v_fma_f32 v107, v51, s5, -v114
	v_add_f32_e32 v90, v38, v90
	v_fma_f32 v100, v48, s7, -v99
	v_add_f32_e32 v34, v34, v69
	v_add_f32_e32 v10, v10, v11
	v_mov_b32_e32 v11, v147
	v_fmac_f32_e32 v14, 0xbf06c442, v71
	v_add_f32_e32 v105, v105, v108
	v_fmac_f32_e32 v109, 0xbf65296c, v66
	v_add_f32_e32 v106, v106, v107
	v_fma_f32 v107, v55, s2, -v115
	v_add_f32_e32 v90, v90, v100
	v_mul_f32_e32 v100, 0xbf4c4adb, v80
	v_add_f32_e32 v34, v34, v75
	v_fmac_f32_e32 v11, 0x3f06c442, v68
	v_mul_f32_e32 v148, 0x3f3d2fb0, v23
	v_add_f32_e32 v14, v39, v14
	v_fmac_f32_e32 v15, 0x3f65296c, v70
	v_add_f32_e32 v105, v105, v109
	v_fmac_f32_e32 v110, 0xbf06c442, v76
	v_add_f32_e32 v106, v106, v107
	v_fma_f32 v107, v58, s6, -v116
	v_fma_f32 v101, v51, s3, -v100
	v_add_f32_e32 v34, v74, v34
	v_add_f32_e32 v10, v10, v11
	v_mov_b32_e32 v11, v148
	v_add_f32_e32 v14, v14, v15
	v_fmac_f32_e32 v18, 0xbf7ee86f, v68
	v_fma_f32 v15, v28, s1, -v138
	v_add_f32_e32 v105, v105, v110
	v_fmac_f32_e32 v111, 0x3f4c4adb, v77
	v_add_f32_e32 v106, v106, v107
	v_fma_f32 v107, v52, s1, -v117
	v_add_f32_e32 v90, v90, v101
	v_mul_f32_e32 v101, 0xbe3c28d5, v81
	v_add_f32_e32 v34, v65, v34
	v_fmac_f32_e32 v11, 0xbf2c7751, v67
	v_mul_f32_e32 v149, 0xbf1a4643, v24
	v_add_f32_e32 v14, v14, v18
	v_add_f32_e32 v15, v38, v15
	v_fma_f32 v18, v48, s6, -v139
	v_add_f32_e32 v105, v105, v111
	v_add_f32_e32 v106, v106, v107
	v_fma_f32 v107, v56, s3, -v118
	v_fmac_f32_e32 v119, 0x3f2c7751, v85
	v_fma_f32 v102, v55, s0, -v101
	v_add_f32_e32 v34, v46, v34
	v_add_f32_e32 v10, v10, v11
	v_mov_b32_e32 v11, v149
	v_fmac_f32_e32 v19, 0x3f4c4adb, v67
	v_add_f32_e32 v15, v15, v18
	v_fma_f32 v18, v51, s7, -v140
	v_add_f32_e32 v107, v106, v107
	v_add_f32_e32 v106, v105, v119
	v_fma_f32 v105, v59, s4, -v120
	v_add_f32_e32 v90, v90, v102
	v_mul_f32_e32 v102, 0x3f06c442, v82
	v_add_f32_e32 v31, v31, v34
	v_fmac_f32_e32 v11, 0x3f4c4adb, v66
	v_mul_f32_e32 v150, 0x3ee437d1, v25
	v_add_f32_e32 v14, v14, v19
	v_fmac_f32_e32 v135, 0xbeb8f4ab, v66
	v_add_f32_e32 v15, v15, v18
	v_fma_f32 v18, v55, s3, -v141
	v_add_f32_e32 v105, v107, v105
	v_fma_f32 v107, v58, s1, -v102
	v_add_f32_e32 v30, v30, v31
	v_add_f32_e32 v31, v38, v43
	v_add_f32_e32 v10, v10, v11
	v_mov_b32_e32 v11, v150
	v_add_f32_e32 v14, v14, v135
	v_fmac_f32_e32 v136, 0xbe3c28d5, v76
	v_add_f32_e32 v15, v15, v18
	v_fma_f32 v18, v58, s2, -v142
	v_add_f32_e32 v90, v90, v107
	v_mul_f32_e32 v107, 0x3f763a35, v83
	v_add_f32_e32 v31, v31, v45
	v_fmac_f32_e32 v11, 0xbf65296c, v76
	v_mul_f32_e32 v151, 0xbe8c1d8e, v26
	v_add_f32_e32 v14, v14, v136
	v_fmac_f32_e32 v137, 0x3f2c7751, v77
	v_add_f32_e32 v15, v15, v18
	v_fma_f32 v18, v52, s0, -v143
	v_fma_f32 v108, v52, s5, -v107
	v_add_f32_e32 v31, v31, v49
	v_add_f32_e32 v10, v10, v11
	v_mov_b32_e32 v11, v151
	v_add_f32_e32 v14, v14, v137
	v_add_f32_e32 v15, v15, v18
	v_fma_f32 v18, v56, s4, -v144
	v_fmac_f32_e32 v145, 0xbf763a35, v85
	v_add_f32_e32 v90, v90, v108
	v_mul_f32_e32 v108, 0x3f65296c, v84
	v_add_f32_e32 v31, v31, v54
	v_fmac_f32_e32 v11, 0x3f763a35, v77
	v_mul_f32_e32 v152, 0xbe3c28d5, v78
	v_add_f32_e32 v18, v15, v18
	v_add_f32_e32 v15, v14, v145
	v_fma_f32 v14, v59, s5, -v146
	v_mul_f32_e32 v135, 0xbf4c4adb, v71
	v_fma_f32 v109, v56, s6, -v108
	v_mul_f32_e32 v110, 0x3eb8f4ab, v85
	v_add_f32_e32 v31, v31, v57
	v_add_f32_e32 v10, v10, v11
	v_mov_b32_e32 v11, v152
	v_mul_f32_e32 v153, 0x3eb8f4ab, v79
	v_add_f32_e32 v14, v18, v14
	v_mov_b32_e32 v18, v135
	v_mul_f32_e32 v136, 0x3f763a35, v70
	v_add_f32_e32 v109, v90, v109
	v_mov_b32_e32 v90, v110
	v_add_f32_e32 v31, v31, v62
	v_fmac_f32_e32 v11, 0xbf7ba420, v28
	v_mov_b32_e32 v154, v153
	v_fmac_f32_e32 v18, 0xbf1a4643, v20
	v_mov_b32_e32 v19, v136
	v_fmac_f32_e32 v90, 0x3f6eb680, v60
	v_mul_f32_e32 v111, 0x3eb8f4ab, v86
	v_add_f32_e32 v31, v31, v64
	v_add_f32_e32 v11, v38, v11
	v_fmac_f32_e32 v154, 0x3f6eb680, v48
	v_fmac_f32_e32 v12, 0xbe3c28d5, v71
	v_add_f32_e32 v18, v39, v18
	v_fmac_f32_e32 v19, 0xbe8c1d8e, v21
	v_mul_f32_e32 v137, 0xbeb8f4ab, v68
	v_fmac_f32_e32 v103, 0xbf763a35, v71
	v_add_f32_e32 v90, v89, v90
	v_fma_f32 v89, v59, s2, -v111
	v_mul_f32_e32 v71, 0xbeb8f4ab, v71
	v_add_f32_e32 v31, v31, v72
	v_add_f32_e32 v11, v11, v154
	v_mul_f32_e32 v154, 0xbf06c442, v80
	v_fmac_f32_e32 v13, 0x3eb8f4ab, v70
	v_add_f32_e32 v18, v18, v19
	v_mov_b32_e32 v19, v137
	v_fmac_f32_e32 v104, 0x3f06c442, v70
	v_add_f32_e32 v89, v109, v89
	v_mov_b32_e32 v109, v71
	v_mul_f32_e32 v70, 0xbf2c7751, v70
	v_add_f32_e32 v31, v73, v31
	v_mov_b32_e32 v155, v154
	v_fmac_f32_e32 v19, 0x3f6eb680, v22
	v_mul_f32_e32 v138, 0xbf06c442, v67
	v_fmac_f32_e32 v109, 0x3f6eb680, v20
	v_mov_b32_e32 v112, v70
	v_add_f32_e32 v31, v63, v31
	v_fmac_f32_e32 v155, 0xbf59a7d5, v51
	v_fmac_f32_e32 v147, 0xbf06c442, v68
	v_add_f32_e32 v18, v18, v19
	v_mov_b32_e32 v19, v138
	v_fmac_f32_e32 v121, 0x3f2c7751, v68
	v_add_f32_e32 v109, v39, v109
	v_fmac_f32_e32 v112, 0x3f3d2fb0, v21
	v_mul_f32_e32 v68, 0xbf65296c, v68
	v_add_f32_e32 v31, v61, v31
	v_add_f32_e32 v11, v11, v155
	v_mul_f32_e32 v155, 0x3f2c7751, v81
	v_fmac_f32_e32 v19, 0xbf59a7d5, v23
	v_mul_f32_e32 v139, 0x3f7ee86f, v66
	v_add_f32_e32 v109, v109, v112
	v_mov_b32_e32 v112, v68
	v_add_f32_e32 v31, v50, v31
	v_mov_b32_e32 v156, v155
	;; [unrolled: 2-line block ×3, first 2 shown]
	v_fmac_f32_e32 v112, 0x3ee437d1, v22
	v_add_f32_e32 v31, v47, v31
	v_fmac_f32_e32 v156, 0x3f3d2fb0, v55
	v_fmac_f32_e32 v19, 0x3dbcf732, v24
	v_mul_f32_e32 v140, 0xbf2c7751, v76
	v_add_f32_e32 v109, v109, v112
	v_mul_f32_e32 v112, 0xbf7ee86f, v67
	v_add_f32_e32 v31, v42, v31
	v_add_f32_e32 v11, v11, v156
	v_mul_f32_e32 v156, 0xbf4c4adb, v82
	v_fmac_f32_e32 v148, 0x3f2c7751, v67
	v_add_f32_e32 v18, v18, v19
	v_mov_b32_e32 v19, v140
	v_fmac_f32_e32 v122, 0xbf65296c, v67
	v_mov_b32_e32 v67, v112
	v_add_f32_e32 v29, v29, v31
	v_mov_b32_e32 v157, v156
	v_fmac_f32_e32 v19, 0x3f3d2fb0, v25
	v_mul_f32_e32 v141, 0xbe3c28d5, v77
	v_fmac_f32_e32 v67, 0x3dbcf732, v23
	v_add_f32_e32 v29, v27, v29
	v_fma_f32 v27, v20, s3, -v135
	v_fmac_f32_e32 v157, 0xbf1a4643, v58
	v_add_f32_e32 v12, v39, v12
	v_add_f32_e32 v18, v18, v19
	v_mov_b32_e32 v19, v141
	v_add_f32_e32 v67, v109, v67
	v_mul_f32_e32 v109, 0xbf763a35, v66
	v_add_f32_e32 v27, v39, v27
	v_fma_f32 v31, v21, s5, -v136
	v_add_f32_e32 v11, v11, v157
	v_mul_f32_e32 v157, 0x3f65296c, v83
	v_add_f32_e32 v12, v12, v13
	v_fmac_f32_e32 v149, 0xbf4c4adb, v66
	v_fma_f32 v13, v28, s0, -v152
	v_fmac_f32_e32 v19, 0xbf7ba420, v26
	v_mul_f32_e32 v142, 0xbf4c4adb, v78
	v_fmac_f32_e32 v123, 0xbe3c28d5, v66
	v_mov_b32_e32 v66, v109
	v_add_f32_e32 v27, v27, v31
	v_fma_f32 v31, v22, s2, -v137
	v_mov_b32_e32 v158, v157
	v_add_f32_e32 v12, v12, v147
	v_fmac_f32_e32 v150, 0x3f65296c, v76
	v_add_f32_e32 v13, v38, v13
	v_fma_f32 v147, v48, s2, -v153
	v_add_f32_e32 v18, v18, v19
	v_fma_f32 v19, v28, s3, -v142
	v_mul_f32_e32 v143, 0x3f763a35, v79
	v_fmac_f32_e32 v124, 0x3f7ee86f, v76
	v_fmac_f32_e32 v66, 0xbe8c1d8e, v24
	v_mul_f32_e32 v76, 0xbf4c4adb, v76
	v_add_f32_e32 v27, v27, v31
	v_fma_f32 v31, v23, s1, -v138
	v_fmac_f32_e32 v158, 0x3ee437d1, v52
	v_add_f32_e32 v12, v12, v148
	v_add_f32_e32 v13, v13, v147
	v_fma_f32 v147, v51, s1, -v154
	v_add_f32_e32 v19, v38, v19
	v_fma_f32 v144, v48, s5, -v143
	v_add_f32_e32 v66, v67, v66
	v_mov_b32_e32 v67, v76
	v_add_f32_e32 v27, v27, v31
	v_fma_f32 v31, v24, s7, -v139
	v_add_f32_e32 v11, v11, v158
	v_mul_f32_e32 v158, 0xbf763a35, v84
	v_add_f32_e32 v12, v12, v149
	v_fmac_f32_e32 v151, 0xbf763a35, v77
	v_add_f32_e32 v13, v13, v147
	v_fma_f32 v147, v55, s4, -v155
	v_add_f32_e32 v19, v19, v144
	v_mul_f32_e32 v144, 0xbeb8f4ab, v80
	v_fmac_f32_e32 v125, 0xbeb8f4ab, v77
	v_fmac_f32_e32 v67, 0xbf1a4643, v25
	v_mul_f32_e32 v77, 0xbf06c442, v77
	v_add_f32_e32 v27, v27, v31
	v_fma_f32 v31, v25, s4, -v140
	v_mov_b32_e32 v159, v158
	v_add_f32_e32 v12, v12, v150
	v_add_f32_e32 v13, v13, v147
	v_fma_f32 v147, v58, s3, -v156
	v_fma_f32 v145, v51, s2, -v144
	v_mul_f32_e32 v150, 0x3f65296c, v85
	v_add_f32_e32 v66, v66, v67
	v_mov_b32_e32 v67, v77
	v_add_f32_e32 v30, v33, v30
	v_add_f32_e32 v27, v27, v31
	v_fma_f32 v31, v26, s0, -v141
	v_fmac_f32_e32 v159, 0xbe8c1d8e, v56
	v_mul_f32_e32 v160, 0x3dbcf732, v60
	v_add_f32_e32 v13, v13, v147
	v_fma_f32 v147, v52, s6, -v157
	v_add_f32_e32 v19, v19, v145
	v_mul_f32_e32 v145, 0xbf06c442, v81
	v_fmac_f32_e32 v67, 0xbf59a7d5, v26
	v_mul_f32_e32 v78, 0xbeb8f4ab, v78
	v_add_f32_e32 v30, v32, v30
	v_add_f32_e32 v27, v27, v31
	v_fma_f32 v32, v60, s6, -v150
	v_add_f32_e32 v159, v11, v159
	v_mov_b32_e32 v11, v160
	v_mul_f32_e32 v161, 0x3f7ee86f, v86
	v_add_f32_e32 v12, v12, v151
	v_add_f32_e32 v13, v13, v147
	v_fma_f32 v147, v56, s5, -v158
	v_fmac_f32_e32 v160, 0x3f7ee86f, v85
	v_fma_f32 v146, v55, s1, -v145
	v_add_f32_e32 v66, v66, v67
	v_fma_f32 v67, v28, s2, -v78
	v_mul_f32_e32 v79, 0xbf2c7751, v79
	v_add_f32_e32 v32, v27, v32
	v_fma_f32 v27, v20, s4, -v91
	v_fma_f32 v20, v20, s2, -v71
	v_add_f32_e32 v147, v13, v147
	v_add_f32_e32 v13, v12, v160
	v_fma_f32 v12, v59, s7, -v161
	v_add_f32_e32 v19, v19, v146
	v_mul_f32_e32 v146, 0x3f7ee86f, v82
	v_add_f32_e32 v67, v38, v67
	v_fma_f32 v113, v48, s4, -v79
	v_mul_f32_e32 v80, 0xbf65296c, v80
	v_fma_f32 v33, v21, s7, -v92
	v_add_f32_e32 v20, v39, v20
	v_fma_f32 v21, v21, s4, -v70
	v_add_f32_e32 v12, v147, v12
	;; [unrolled: 2-line block ×3, first 2 shown]
	v_fma_f32 v113, v51, s6, -v80
	v_mul_f32_e32 v81, 0xbf7ee86f, v81
	v_add_f32_e32 v20, v20, v21
	v_fma_f32 v21, v22, s6, -v68
	v_add_f32_e32 v19, v19, v147
	v_mul_f32_e32 v147, 0xbf2c7751, v83
	v_add_f32_e32 v67, v67, v113
	v_fma_f32 v113, v55, s7, -v81
	v_mul_f32_e32 v82, 0xbf763a35, v82
	v_add_f32_e32 v20, v20, v21
	v_fma_f32 v21, v23, s7, -v112
	v_fma_f32 v148, v52, s4, -v147
	v_add_f32_e32 v103, v39, v103
	v_add_f32_e32 v67, v67, v113
	v_fma_f32 v113, v58, s5, -v82
	v_mul_f32_e32 v83, 0xbf4c4adb, v83
	v_add_f32_e32 v20, v20, v21
	v_fma_f32 v21, v24, s5, -v109
	v_add_f32_e32 v19, v19, v148
	v_mul_f32_e32 v148, 0xbe3c28d5, v84
	v_add_f32_e32 v103, v103, v104
	v_fma_f32 v104, v28, s5, -v126
	v_add_f32_e32 v67, v67, v113
	v_fma_f32 v113, v52, s3, -v83
	v_mul_f32_e32 v84, 0xbf06c442, v84
	v_add_f32_e32 v20, v20, v21
	v_fma_f32 v21, v25, s3, -v76
	v_fmac_f32_e32 v11, 0xbf7ee86f, v85
	v_add_f32_e32 v103, v103, v121
	v_add_f32_e32 v104, v38, v104
	v_fma_f32 v121, v48, s1, -v127
	v_fmac_f32_e32 v133, 0xbf4c4adb, v85
	v_add_f32_e32 v67, v67, v113
	v_fma_f32 v113, v56, s1, -v84
	v_mul_f32_e32 v85, 0xbe3c28d5, v85
	v_add_f32_e32 v27, v39, v27
	v_add_f32_e32 v20, v20, v21
	v_fma_f32 v21, v26, s1, -v77
	v_add_f32_e32 v104, v104, v121
	v_fma_f32 v121, v51, s4, -v128
	v_add_f32_e32 v113, v67, v113
	v_mov_b32_e32 v67, v85
	v_add_f32_e32 v27, v27, v33
	v_fma_f32 v33, v22, s3, -v93
	v_add_f32_e32 v20, v20, v21
	v_fma_f32 v21, v60, s0, -v85
	v_fmac_f32_e32 v78, 0x3f6eb680, v28
	v_mul_f32_e32 v151, 0x3f65296c, v86
	v_add_f32_e32 v104, v104, v121
	v_fma_f32 v121, v55, s6, -v129
	v_fmac_f32_e32 v67, 0xbf7ba420, v60
	v_mul_f32_e32 v86, 0xbe3c28d5, v86
	v_add_f32_e32 v27, v27, v33
	v_fma_f32 v33, v23, s0, -v94
	v_add_f32_e32 v21, v20, v21
	v_add_f32_e32 v20, v38, v78
	v_fmac_f32_e32 v79, 0x3f3d2fb0, v48
	v_fma_f32 v149, v56, s0, -v148
	v_add_f32_e32 v104, v104, v121
	v_fma_f32 v121, v58, s0, -v130
	v_add_f32_e32 v67, v66, v67
	;; [unrolled: 2-line block ×4, first 2 shown]
	v_fmac_f32_e32 v80, 0x3ee437d1, v51
	v_mad_u64_u32 v[22:23], s[0:1], s20, v44, 0
	v_add_f32_e32 v20, v20, v80
	v_fmac_f32_e32 v81, 0x3dbcf732, v55
	v_add_f32_e32 v20, v20, v81
	v_fmac_f32_e32 v82, 0xbe8c1d8e, v58
	;; [unrolled: 2-line block ×3, first 2 shown]
	v_add_f32_e32 v27, v27, v33
	v_fma_f32 v33, v25, s5, -v96
	v_add_f32_e32 v25, v20, v83
	v_mov_b32_e32 v20, v23
	v_fmac_f32_e32 v84, 0xbf59a7d5, v56
	v_mad_u64_u32 v[23:24], s[0:1], s21, v44, v[20:21]
	v_add_f32_e32 v27, v27, v33
	v_fma_f32 v33, v26, s6, -v97
	v_add_f32_e32 v20, v25, v84
	v_mov_b32_e32 v24, s11
	v_add_co_u32_e32 v25, vcc, s10, v2
	v_add_f32_e32 v27, v27, v33
	v_fma_f32 v33, v60, s2, -v110
	v_fmac_f32_e32 v98, 0x3f3d2fb0, v28
	v_addc_co_u32_e32 v24, vcc, v24, v3, vcc
	v_lshlrev_b64 v[2:3], 3, v[16:17]
	v_add_f32_e32 v34, v27, v33
	v_add_f32_e32 v27, v38, v98
	v_fmac_f32_e32 v99, 0x3dbcf732, v48
	v_add_f32_e32 v27, v27, v99
	v_fmac_f32_e32 v100, 0xbf1a4643, v51
	v_add_co_u32_e32 v25, vcc, v25, v2
	v_add_f32_e32 v27, v27, v100
	v_fmac_f32_e32 v101, 0xbf7ba420, v55
	v_addc_co_u32_e32 v26, vcc, v24, v3, vcc
	v_lshlrev_b64 v[2:3], 3, v[22:23]
	v_add_u32_e32 v22, 52, v44
	v_add_f32_e32 v149, v19, v149
	v_mov_b32_e32 v19, v150
	v_add_f32_e32 v27, v27, v101
	v_fmac_f32_e32 v102, 0xbf59a7d5, v58
	v_mad_u64_u32 v[16:17], s[0:1], s20, v22, 0
	v_fmac_f32_e32 v19, 0x3ee437d1, v60
	v_add_f32_e32 v27, v27, v102
	v_fmac_f32_e32 v107, 0xbe8c1d8e, v52
	v_add_f32_e32 v19, v18, v19
	v_fma_f32 v18, v59, s6, -v151
	v_add_f32_e32 v27, v27, v107
	v_fmac_f32_e32 v108, 0x3ee437d1, v56
	v_add_f32_e32 v18, v149, v18
	v_add_f32_e32 v27, v27, v108
	v_fmac_f32_e32 v111, 0x3f6eb680, v59
	v_add_f32_e32 v33, v27, v111
	v_mad_u64_u32 v[22:23], s[0:1], s21, v22, v[17:18]
	v_add_u32_e32 v27, 0x68, v44
	v_mad_u64_u32 v[23:24], s[0:1], s20, v27, 0
	v_add_co_u32_e32 v2, vcc, v25, v2
	v_add_f32_e32 v30, v40, v30
	v_addc_co_u32_e32 v3, vcc, v26, v3, vcc
	v_mov_b32_e32 v17, v22
	global_store_dwordx2 v[2:3], v[29:30], off
	v_lshlrev_b64 v[2:3], 3, v[16:17]
	v_mov_b32_e32 v16, v24
	v_mad_u64_u32 v[16:17], s[0:1], s21, v27, v[16:17]
	v_add_u32_e32 v22, 0x9c, v44
	v_add_co_u32_e32 v2, vcc, v25, v2
	v_mov_b32_e32 v24, v16
	v_mad_u64_u32 v[16:17], s[0:1], s20, v22, 0
	v_add_f32_e32 v66, v113, v66
	v_addc_co_u32_e32 v3, vcc, v26, v3, vcc
	global_store_dwordx2 v[2:3], v[66:67], off
	v_lshlrev_b64 v[2:3], 3, v[23:24]
	v_mad_u64_u32 v[22:23], s[0:1], s21, v22, v[17:18]
	v_add_u32_e32 v27, 0xd0, v44
	v_mad_u64_u32 v[23:24], s[0:1], s20, v27, 0
	v_add_co_u32_e32 v2, vcc, v25, v2
	v_addc_co_u32_e32 v3, vcc, v26, v3, vcc
	v_mov_b32_e32 v17, v22
	global_store_dwordx2 v[2:3], v[89:90], off
	v_lshlrev_b64 v[2:3], 3, v[16:17]
	v_mov_b32_e32 v16, v24
	v_mad_u64_u32 v[16:17], s[0:1], s21, v27, v[16:17]
	v_add_u32_e32 v22, 0x104, v44
	v_add_co_u32_e32 v2, vcc, v25, v2
	v_mov_b32_e32 v24, v16
	v_mad_u64_u32 v[16:17], s[0:1], s20, v22, 0
	v_addc_co_u32_e32 v3, vcc, v26, v3, vcc
	global_store_dwordx2 v[2:3], v[87:88], off
	v_lshlrev_b64 v[2:3], 3, v[23:24]
	v_mad_u64_u32 v[22:23], s[0:1], s21, v22, v[17:18]
	v_add_u32_e32 v27, 0x138, v44
	v_mad_u64_u32 v[23:24], s[0:1], s20, v27, 0
	v_add_co_u32_e32 v2, vcc, v25, v2
	v_addc_co_u32_e32 v3, vcc, v26, v3, vcc
	v_mov_b32_e32 v17, v22
	global_store_dwordx2 v[2:3], v[105:106], off
	v_lshlrev_b64 v[2:3], 3, v[16:17]
	v_mov_b32_e32 v16, v24
	v_mad_u64_u32 v[16:17], s[0:1], s21, v27, v[16:17]
	v_add_f32_e32 v103, v103, v122
	v_add_f32_e32 v103, v103, v123
	v_add_u32_e32 v22, 0x16c, v44
	v_add_f32_e32 v103, v103, v124
	v_add_f32_e32 v104, v104, v121
	v_fma_f32 v121, v52, s7, -v131
	v_mov_b32_e32 v24, v16
	v_mad_u64_u32 v[16:17], s[0:1], s20, v22, 0
	v_add_f32_e32 v103, v103, v125
	v_add_f32_e32 v104, v104, v121
	v_fma_f32 v121, v56, s2, -v132
	v_add_f32_e32 v121, v104, v121
	v_add_f32_e32 v104, v103, v133
	v_fma_f32 v103, v59, s3, -v134
	v_add_co_u32_e32 v2, vcc, v25, v2
	v_add_f32_e32 v103, v121, v103
	v_addc_co_u32_e32 v3, vcc, v26, v3, vcc
	global_store_dwordx2 v[2:3], v[103:104], off
	v_lshlrev_b64 v[2:3], 3, v[23:24]
	v_mad_u64_u32 v[22:23], s[0:1], s21, v22, v[17:18]
	v_add_u32_e32 v27, 0x1a0, v44
	v_mad_u64_u32 v[23:24], s[0:1], s20, v27, 0
	v_add_co_u32_e32 v2, vcc, v25, v2
	v_addc_co_u32_e32 v3, vcc, v26, v3, vcc
	v_mov_b32_e32 v17, v22
	global_store_dwordx2 v[2:3], v[18:19], off
	v_lshlrev_b64 v[2:3], 3, v[16:17]
	v_mov_b32_e32 v16, v24
	v_mad_u64_u32 v[16:17], s[0:1], s21, v27, v[16:17]
	v_add_co_u32_e32 v2, vcc, v25, v2
	v_addc_co_u32_e32 v3, vcc, v26, v3, vcc
	v_mov_b32_e32 v24, v16
	v_add_u32_e32 v16, 0x1d4, v44
	global_store_dwordx2 v[2:3], v[14:15], off
	v_mad_u64_u32 v[14:15], s[0:1], s20, v16, 0
	v_add_u32_e32 v18, 0x208, v44
	v_lshlrev_b64 v[2:3], 3, v[23:24]
	v_mad_u64_u32 v[15:16], s[0:1], s21, v16, v[15:16]
	v_mad_u64_u32 v[16:17], s[0:1], s20, v18, 0
	v_add_co_u32_e32 v2, vcc, v25, v2
	v_addc_co_u32_e32 v3, vcc, v26, v3, vcc
	global_store_dwordx2 v[2:3], v[12:13], off
	v_mov_b32_e32 v12, v17
	v_mad_u64_u32 v[12:13], s[0:1], s21, v18, v[12:13]
	v_lshlrev_b64 v[2:3], 3, v[14:15]
	v_add_f32_e32 v11, v10, v11
	v_mov_b32_e32 v10, v161
	v_fmac_f32_e32 v10, 0x3dbcf732, v59
	v_add_co_u32_e32 v2, vcc, v25, v2
	v_add_f32_e32 v10, v159, v10
	v_addc_co_u32_e32 v3, vcc, v26, v3, vcc
	v_mov_b32_e32 v17, v12
	v_add_u32_e32 v12, 0x23c, v44
	global_store_dwordx2 v[2:3], v[10:11], off
	v_mad_u64_u32 v[10:11], s[0:1], s20, v12, 0
	v_add_u32_e32 v14, 0x270, v44
	v_lshlrev_b64 v[2:3], 3, v[16:17]
	v_mad_u64_u32 v[11:12], s[0:1], s21, v12, v[11:12]
	v_mad_u64_u32 v[12:13], s[0:1], s20, v14, 0
	v_add_co_u32_e32 v2, vcc, v25, v2
	v_addc_co_u32_e32 v3, vcc, v26, v3, vcc
	v_fmac_f32_e32 v142, 0xbf1a4643, v28
	global_store_dwordx2 v[2:3], v[8:9], off
	v_mov_b32_e32 v8, v13
	v_add_f32_e32 v31, v38, v142
	v_fmac_f32_e32 v143, 0xbe8c1d8e, v48
	v_mad_u64_u32 v[8:9], s[0:1], s21, v14, v[8:9]
	v_add_f32_e32 v31, v31, v143
	v_fmac_f32_e32 v144, 0x3f6eb680, v51
	v_add_f32_e32 v31, v31, v144
	v_fmac_f32_e32 v145, 0xbf59a7d5, v55
	;; [unrolled: 2-line block ×3, first 2 shown]
	v_lshlrev_b64 v[2:3], 3, v[10:11]
	v_add_u32_e32 v10, 0x2a4, v44
	v_add_f32_e32 v31, v31, v146
	v_fmac_f32_e32 v147, 0x3f3d2fb0, v52
	v_mov_b32_e32 v13, v8
	v_mad_u64_u32 v[8:9], s[0:1], s20, v10, 0
	v_add_f32_e32 v31, v31, v147
	v_fmac_f32_e32 v148, 0xbf7ba420, v56
	v_add_f32_e32 v31, v31, v148
	v_fmac_f32_e32 v151, 0x3ee437d1, v59
	v_add_co_u32_e32 v2, vcc, v25, v2
	v_add_f32_e32 v31, v31, v151
	v_addc_co_u32_e32 v3, vcc, v26, v3, vcc
	global_store_dwordx2 v[2:3], v[31:32], off
	v_lshlrev_b64 v[2:3], 3, v[12:13]
	v_mad_u64_u32 v[9:10], s[0:1], s21, v10, v[9:10]
	v_add_u32_e32 v12, 0x2d8, v44
	v_mad_u64_u32 v[10:11], s[0:1], s20, v12, 0
	v_add_co_u32_e32 v2, vcc, v25, v2
	v_addc_co_u32_e32 v3, vcc, v26, v3, vcc
	global_store_dwordx2 v[2:3], v[6:7], off
	v_mov_b32_e32 v6, v11
	v_mad_u64_u32 v[6:7], s[0:1], s21, v12, v[6:7]
	v_lshlrev_b64 v[2:3], 3, v[8:9]
	v_or_b32_e32 v8, 0x340, v44
	v_add_co_u32_e32 v2, vcc, v25, v2
	v_addc_co_u32_e32 v3, vcc, v26, v3, vcc
	v_mov_b32_e32 v11, v6
	v_add_u32_e32 v6, 0x30c, v44
	global_store_dwordx2 v[2:3], v[4:5], off
	v_mad_u64_u32 v[4:5], s[0:1], s20, v6, 0
	v_lshlrev_b64 v[2:3], 3, v[10:11]
	v_fmac_f32_e32 v86, 0xbf7ba420, v59
	v_mad_u64_u32 v[5:6], s[0:1], s21, v6, v[5:6]
	v_mad_u64_u32 v[6:7], s[0:1], s20, v8, 0
	v_add_co_u32_e32 v2, vcc, v25, v2
	v_addc_co_u32_e32 v3, vcc, v26, v3, vcc
	global_store_dwordx2 v[2:3], v[0:1], off
	v_mov_b32_e32 v2, v7
	v_mad_u64_u32 v[2:3], s[0:1], s21, v8, v[2:3]
	v_lshlrev_b64 v[0:1], 3, v[4:5]
	v_add_f32_e32 v20, v20, v86
	v_add_co_u32_e32 v0, vcc, v25, v0
	v_addc_co_u32_e32 v1, vcc, v26, v1, vcc
	v_mov_b32_e32 v7, v2
	global_store_dwordx2 v[0:1], v[33:34], off
	v_lshlrev_b64 v[0:1], 3, v[6:7]
	v_add_co_u32_e32 v0, vcc, v25, v0
	v_addc_co_u32_e32 v1, vcc, v26, v1, vcc
	global_store_dwordx2 v[0:1], v[20:21], off
.LBB0_26:
	s_endpgm
	.section	.rodata,"a",@progbits
	.p2align	6, 0x0
	.amdhsa_kernel fft_rtc_fwd_len884_factors_13_4_17_wgs_204_tpt_68_halfLds_sp_op_CI_CI_sbrr_dirReg
		.amdhsa_group_segment_fixed_size 0
		.amdhsa_private_segment_fixed_size 0
		.amdhsa_kernarg_size 104
		.amdhsa_user_sgpr_count 6
		.amdhsa_user_sgpr_private_segment_buffer 1
		.amdhsa_user_sgpr_dispatch_ptr 0
		.amdhsa_user_sgpr_queue_ptr 0
		.amdhsa_user_sgpr_kernarg_segment_ptr 1
		.amdhsa_user_sgpr_dispatch_id 0
		.amdhsa_user_sgpr_flat_scratch_init 0
		.amdhsa_user_sgpr_private_segment_size 0
		.amdhsa_uses_dynamic_stack 0
		.amdhsa_system_sgpr_private_segment_wavefront_offset 0
		.amdhsa_system_sgpr_workgroup_id_x 1
		.amdhsa_system_sgpr_workgroup_id_y 0
		.amdhsa_system_sgpr_workgroup_id_z 0
		.amdhsa_system_sgpr_workgroup_info 0
		.amdhsa_system_vgpr_workitem_id 0
		.amdhsa_next_free_vgpr 162
		.amdhsa_next_free_sgpr 32
		.amdhsa_reserve_vcc 1
		.amdhsa_reserve_flat_scratch 0
		.amdhsa_float_round_mode_32 0
		.amdhsa_float_round_mode_16_64 0
		.amdhsa_float_denorm_mode_32 3
		.amdhsa_float_denorm_mode_16_64 3
		.amdhsa_dx10_clamp 1
		.amdhsa_ieee_mode 1
		.amdhsa_fp16_overflow 0
		.amdhsa_exception_fp_ieee_invalid_op 0
		.amdhsa_exception_fp_denorm_src 0
		.amdhsa_exception_fp_ieee_div_zero 0
		.amdhsa_exception_fp_ieee_overflow 0
		.amdhsa_exception_fp_ieee_underflow 0
		.amdhsa_exception_fp_ieee_inexact 0
		.amdhsa_exception_int_div_zero 0
	.end_amdhsa_kernel
	.text
.Lfunc_end0:
	.size	fft_rtc_fwd_len884_factors_13_4_17_wgs_204_tpt_68_halfLds_sp_op_CI_CI_sbrr_dirReg, .Lfunc_end0-fft_rtc_fwd_len884_factors_13_4_17_wgs_204_tpt_68_halfLds_sp_op_CI_CI_sbrr_dirReg
                                        ; -- End function
	.section	.AMDGPU.csdata,"",@progbits
; Kernel info:
; codeLenInByte = 13184
; NumSgprs: 36
; NumVgprs: 162
; ScratchSize: 0
; MemoryBound: 0
; FloatMode: 240
; IeeeMode: 1
; LDSByteSize: 0 bytes/workgroup (compile time only)
; SGPRBlocks: 4
; VGPRBlocks: 40
; NumSGPRsForWavesPerEU: 36
; NumVGPRsForWavesPerEU: 162
; Occupancy: 1
; WaveLimiterHint : 1
; COMPUTE_PGM_RSRC2:SCRATCH_EN: 0
; COMPUTE_PGM_RSRC2:USER_SGPR: 6
; COMPUTE_PGM_RSRC2:TRAP_HANDLER: 0
; COMPUTE_PGM_RSRC2:TGID_X_EN: 1
; COMPUTE_PGM_RSRC2:TGID_Y_EN: 0
; COMPUTE_PGM_RSRC2:TGID_Z_EN: 0
; COMPUTE_PGM_RSRC2:TIDIG_COMP_CNT: 0
	.type	__hip_cuid_afd347cf980aa2dc,@object ; @__hip_cuid_afd347cf980aa2dc
	.section	.bss,"aw",@nobits
	.globl	__hip_cuid_afd347cf980aa2dc
__hip_cuid_afd347cf980aa2dc:
	.byte	0                               ; 0x0
	.size	__hip_cuid_afd347cf980aa2dc, 1

	.ident	"AMD clang version 19.0.0git (https://github.com/RadeonOpenCompute/llvm-project roc-6.4.0 25133 c7fe45cf4b819c5991fe208aaa96edf142730f1d)"
	.section	".note.GNU-stack","",@progbits
	.addrsig
	.addrsig_sym __hip_cuid_afd347cf980aa2dc
	.amdgpu_metadata
---
amdhsa.kernels:
  - .args:
      - .actual_access:  read_only
        .address_space:  global
        .offset:         0
        .size:           8
        .value_kind:     global_buffer
      - .offset:         8
        .size:           8
        .value_kind:     by_value
      - .actual_access:  read_only
        .address_space:  global
        .offset:         16
        .size:           8
        .value_kind:     global_buffer
      - .actual_access:  read_only
        .address_space:  global
        .offset:         24
        .size:           8
        .value_kind:     global_buffer
      - .actual_access:  read_only
        .address_space:  global
        .offset:         32
        .size:           8
        .value_kind:     global_buffer
      - .offset:         40
        .size:           8
        .value_kind:     by_value
      - .actual_access:  read_only
        .address_space:  global
        .offset:         48
        .size:           8
        .value_kind:     global_buffer
      - .actual_access:  read_only
        .address_space:  global
        .offset:         56
        .size:           8
        .value_kind:     global_buffer
      - .offset:         64
        .size:           4
        .value_kind:     by_value
      - .actual_access:  read_only
        .address_space:  global
        .offset:         72
        .size:           8
        .value_kind:     global_buffer
      - .actual_access:  read_only
        .address_space:  global
        .offset:         80
        .size:           8
        .value_kind:     global_buffer
      - .actual_access:  read_only
        .address_space:  global
        .offset:         88
        .size:           8
        .value_kind:     global_buffer
      - .actual_access:  write_only
        .address_space:  global
        .offset:         96
        .size:           8
        .value_kind:     global_buffer
    .group_segment_fixed_size: 0
    .kernarg_segment_align: 8
    .kernarg_segment_size: 104
    .language:       OpenCL C
    .language_version:
      - 2
      - 0
    .max_flat_workgroup_size: 204
    .name:           fft_rtc_fwd_len884_factors_13_4_17_wgs_204_tpt_68_halfLds_sp_op_CI_CI_sbrr_dirReg
    .private_segment_fixed_size: 0
    .sgpr_count:     36
    .sgpr_spill_count: 0
    .symbol:         fft_rtc_fwd_len884_factors_13_4_17_wgs_204_tpt_68_halfLds_sp_op_CI_CI_sbrr_dirReg.kd
    .uniform_work_group_size: 1
    .uses_dynamic_stack: false
    .vgpr_count:     162
    .vgpr_spill_count: 0
    .wavefront_size: 64
amdhsa.target:   amdgcn-amd-amdhsa--gfx906
amdhsa.version:
  - 1
  - 2
...

	.end_amdgpu_metadata
